;; amdgpu-corpus repo=ROCm/rocFFT kind=compiled arch=gfx906 opt=O3
	.text
	.amdgcn_target "amdgcn-amd-amdhsa--gfx906"
	.amdhsa_code_object_version 6
	.protected	bluestein_single_fwd_len544_dim1_dp_op_CI_CI ; -- Begin function bluestein_single_fwd_len544_dim1_dp_op_CI_CI
	.globl	bluestein_single_fwd_len544_dim1_dp_op_CI_CI
	.p2align	8
	.type	bluestein_single_fwd_len544_dim1_dp_op_CI_CI,@function
bluestein_single_fwd_len544_dim1_dp_op_CI_CI: ; @bluestein_single_fwd_len544_dim1_dp_op_CI_CI
; %bb.0:
	s_mov_b64 s[62:63], s[2:3]
	v_mul_u32_u24_e32 v1, 0x788, v0
	s_mov_b64 s[60:61], s[0:1]
	s_load_dwordx4 s[0:3], s[4:5], 0x28
	v_lshrrev_b32_e32 v1, 16, v1
	s_add_u32 s60, s60, s7
	v_mad_u64_u32 v[243:244], s[6:7], s6, 3, v[1:2]
	v_mov_b32_e32 v244, 0
	s_addc_u32 s61, s61, 0
	s_waitcnt lgkmcnt(0)
	v_cmp_gt_u64_e32 vcc, s[0:1], v[243:244]
	s_and_saveexec_b64 s[0:1], vcc
	s_cbranch_execz .LBB0_15
; %bb.1:
	s_mov_b32 s0, 0xaaaaaaab
	v_mul_hi_u32 v2, v243, s0
	v_mul_lo_u16_e32 v1, 34, v1
	v_sub_u16_e32 v255, v0, v1
	s_load_dwordx2 s[16:17], s[4:5], 0x0
	s_load_dwordx2 s[18:19], s[4:5], 0x38
	v_lshrrev_b32_e32 v0, 1, v2
	v_lshl_add_u32 v0, v0, 1, v0
	v_sub_u32_e32 v0, v243, v0
	v_mul_u32_u24_e32 v167, 0x220, v0
	v_or_b32_e32 v0, v167, v255
	v_cmp_gt_u16_e32 vcc, 32, v255
	v_lshlrev_b32_e32 v196, 4, v255
	v_lshlrev_b32_e32 v244, 4, v0
	v_or_b32_e32 v242, 32, v255
	v_or_b32_e32 v241, 64, v255
	s_and_saveexec_b64 s[20:21], vcc
	s_cbranch_execz .LBB0_3
; %bb.2:
	s_load_dwordx2 s[0:1], s[4:5], 0x18
	v_or_b32_e32 v26, 0x60, v255
	v_or_b32_e32 v27, 0x80, v255
	;; [unrolled: 1-line block ×4, first 2 shown]
	s_waitcnt lgkmcnt(0)
	s_load_dwordx4 s[12:15], s[0:1], 0x0
	v_or_b32_e32 v58, 0xe0, v255
	v_or_b32_e32 v131, 0x200, v255
	v_lshlrev_b32_e32 v28, 4, v131
	v_or_b32_e32 v78, 0x100, v255
	s_waitcnt lgkmcnt(0)
	v_mad_u64_u32 v[0:1], s[0:1], s14, v243, 0
	v_mad_u64_u32 v[2:3], s[0:1], s12, v255, 0
	v_or_b32_e32 v84, 0x120, v255
	v_or_b32_e32 v92, 0x140, v255
	v_mad_u64_u32 v[4:5], s[0:1], s15, v243, v[1:2]
	v_or_b32_e32 v100, 0x160, v255
	v_or_b32_e32 v108, 0x180, v255
	v_mad_u64_u32 v[5:6], s[0:1], s13, v255, v[3:4]
	v_mov_b32_e32 v1, v4
	v_lshlrev_b64 v[0:1], 4, v[0:1]
	v_mov_b32_e32 v3, v5
	v_mov_b32_e32 v6, s3
	v_lshlrev_b64 v[2:3], 4, v[2:3]
	v_add_co_u32_e64 v24, s[0:1], s2, v0
	v_addc_co_u32_e64 v25, s[0:1], v6, v1, s[0:1]
	v_add_co_u32_e64 v16, s[0:1], v24, v2
	v_addc_co_u32_e64 v17, s[0:1], v25, v3, s[0:1]
	v_mad_u64_u32 v[32:33], s[0:1], s12, v242, 0
	v_mad_u64_u32 v[34:35], s[0:1], s12, v241, 0
	v_mad_u64_u32 v[36:37], s[0:1], s12, v26, 0
	v_mad_u64_u32 v[38:39], s[0:1], s12, v27, 0
	v_mad_u64_u32 v[52:53], s[0:1], s12, v48, 0
	v_mad_u64_u32 v[40:41], s[0:1], s12, v47, 0
	v_mad_u64_u32 v[43:44], s[0:1], s13, v242, v[33:34]
	v_mad_u64_u32 v[44:45], s[0:1], s13, v241, v[35:36]
	v_mov_b32_e32 v42, v53
	v_mad_u64_u32 v[45:46], s[0:1], s13, v26, v[37:38]
	v_mad_u64_u32 v[26:27], s[0:1], s13, v27, v[39:40]
	;; [unrolled: 1-line block ×3, first 2 shown]
	v_mov_b32_e32 v33, v43
	v_mad_u64_u32 v[60:61], s[0:1], s12, v58, 0
	v_mad_u64_u32 v[53:54], s[0:1], s13, v48, v[42:43]
	v_mov_b32_e32 v35, v44
	v_mov_b32_e32 v37, v45
	;; [unrolled: 1-line block ×4, first 2 shown]
	v_lshlrev_b64 v[26:27], 4, v[32:33]
	v_lshlrev_b64 v[32:33], 4, v[34:35]
	v_lshlrev_b64 v[34:35], 4, v[36:37]
	v_lshlrev_b64 v[36:37], 4, v[38:39]
	v_lshlrev_b64 v[38:39], 4, v[40:41]
	v_add_co_u32_e64 v26, s[0:1], v24, v26
	v_add_co_u32_e64 v48, s[2:3], v24, v32
	;; [unrolled: 1-line block ×5, first 2 shown]
	v_addc_co_u32_e64 v27, s[0:1], v25, v27, s[0:1]
	global_load_dwordx4 v[0:3], v196, s[16:17]
	global_load_dwordx4 v[4:7], v[16:17], off
	global_load_dwordx4 v[8:11], v196, s[16:17] offset:512
	global_load_dwordx4 v[12:15], v196, s[16:17] offset:1024
	s_nop 0
	global_load_dwordx4 v[16:19], v196, s[16:17] offset:1536
	global_load_dwordx4 v[20:23], v196, s[16:17] offset:2048
	v_addc_co_u32_e64 v49, s[0:1], v25, v33, s[2:3]
	global_load_dwordx4 v[28:31], v28, s[16:17]
	v_addc_co_u32_e64 v51, s[0:1], v25, v35, s[6:7]
	v_addc_co_u32_e64 v55, s[0:1], v25, v37, s[8:9]
	;; [unrolled: 1-line block ×3, first 2 shown]
	global_load_dwordx4 v[32:35], v[26:27], off
	global_load_dwordx4 v[36:39], v[48:49], off
	;; [unrolled: 1-line block ×4, first 2 shown]
	v_lshlrev_b64 v[26:27], 4, v[52:53]
	v_mov_b32_e32 v52, v61
	v_mad_u64_u32 v[61:62], s[0:1], s13, v58, v[52:53]
	v_add_co_u32_e64 v26, s[0:1], v24, v26
	v_addc_co_u32_e64 v27, s[0:1], v25, v27, s[0:1]
	v_mad_u64_u32 v[72:73], s[0:1], s12, v78, 0
	v_lshlrev_b64 v[60:61], 4, v[60:61]
	global_load_dwordx4 v[48:51], v[56:57], off
	v_add_co_u32_e64 v74, s[0:1], v24, v60
	v_mov_b32_e32 v60, v73
	v_addc_co_u32_e64 v75, s[0:1], v25, v61, s[0:1]
	v_mad_u64_u32 v[76:77], s[0:1], s13, v78, v[60:61]
	v_mad_u64_u32 v[80:81], s[0:1], s12, v84, 0
	v_mov_b32_e32 v73, v76
	global_load_dwordx4 v[52:55], v196, s[16:17] offset:2560
	global_load_dwordx4 v[56:59], v196, s[16:17] offset:3072
	global_load_dwordx4 v[60:63], v[26:27], off
	global_load_dwordx4 v[64:67], v[74:75], off
	global_load_dwordx4 v[68:71], v196, s[16:17] offset:3584
	v_lshlrev_b64 v[26:27], 4, v[72:73]
	v_mov_b32_e32 v72, v81
	v_add_co_u32_e64 v26, s[0:1], v24, v26
	v_addc_co_u32_e64 v27, s[0:1], v25, v27, s[0:1]
	v_mad_u64_u32 v[81:82], s[0:1], s13, v84, v[72:73]
	v_mad_u64_u32 v[88:89], s[0:1], s12, v92, 0
	global_load_dwordx4 v[72:75], v[26:27], off
	v_lshlrev_b32_e32 v26, 4, v78
	global_load_dwordx4 v[76:79], v26, s[16:17]
	v_lshlrev_b64 v[26:27], 4, v[80:81]
	v_mov_b32_e32 v80, v89
	v_add_co_u32_e64 v26, s[0:1], v24, v26
	v_addc_co_u32_e64 v27, s[0:1], v25, v27, s[0:1]
	v_mad_u64_u32 v[89:90], s[0:1], s13, v92, v[80:81]
	v_mad_u64_u32 v[96:97], s[0:1], s12, v100, 0
	global_load_dwordx4 v[80:83], v[26:27], off
	v_lshlrev_b32_e32 v26, 4, v84
	global_load_dwordx4 v[84:87], v26, s[16:17]
	;; [unrolled: 9-line block ×3, first 2 shown]
	v_lshlrev_b64 v[26:27], 4, v[96:97]
	v_mov_b32_e32 v96, v105
	v_add_co_u32_e64 v26, s[0:1], v24, v26
	v_addc_co_u32_e64 v27, s[0:1], v25, v27, s[0:1]
	v_mad_u64_u32 v[105:106], s[0:1], s13, v108, v[96:97]
	v_or_b32_e32 v116, 0x1a0, v255
	v_mad_u64_u32 v[112:113], s[0:1], s12, v116, 0
	global_load_dwordx4 v[96:99], v[26:27], off
	v_lshlrev_b32_e32 v26, 4, v100
	global_load_dwordx4 v[100:103], v26, s[16:17]
	v_lshlrev_b64 v[26:27], 4, v[104:105]
	v_mov_b32_e32 v104, v113
	v_add_co_u32_e64 v26, s[0:1], v24, v26
	v_addc_co_u32_e64 v27, s[0:1], v25, v27, s[0:1]
	v_mad_u64_u32 v[113:114], s[0:1], s13, v116, v[104:105]
	v_or_b32_e32 v124, 0x1c0, v255
	v_mad_u64_u32 v[120:121], s[0:1], s12, v124, 0
	global_load_dwordx4 v[104:107], v[26:27], off
	v_lshlrev_b32_e32 v26, 4, v108
	global_load_dwordx4 v[108:111], v26, s[16:17]
	;; [unrolled: 10-line block ×3, first 2 shown]
	v_lshlrev_b64 v[26:27], 4, v[120:121]
	v_mov_b32_e32 v120, v129
	v_add_co_u32_e64 v26, s[0:1], v24, v26
	v_addc_co_u32_e64 v27, s[0:1], v25, v27, s[0:1]
	v_mad_u64_u32 v[129:130], s[0:1], s13, v132, v[120:121]
	v_mad_u64_u32 v[138:139], s[0:1], s12, v131, 0
	global_load_dwordx4 v[120:123], v[26:27], off
	v_lshlrev_b32_e32 v26, 4, v124
	global_load_dwordx4 v[124:127], v26, s[16:17]
	v_lshlrev_b64 v[26:27], 4, v[128:129]
	v_mov_b32_e32 v128, v139
	v_add_co_u32_e64 v26, s[0:1], v24, v26
	v_addc_co_u32_e64 v27, s[0:1], v25, v27, s[0:1]
	v_mad_u64_u32 v[139:140], s[0:1], s13, v131, v[128:129]
	global_load_dwordx4 v[128:131], v[26:27], off
	v_lshlrev_b32_e32 v26, 4, v132
	global_load_dwordx4 v[132:135], v26, s[16:17]
	v_lshlrev_b64 v[26:27], 4, v[138:139]
	s_waitcnt vmcnt(31)
	v_mul_f64 v[136:137], v[6:7], v[2:3]
	v_add_co_u32_e64 v24, s[0:1], v24, v26
	v_addc_co_u32_e64 v25, s[0:1], v25, v27, s[0:1]
	global_load_dwordx4 v[24:27], v[24:25], off
	v_mul_f64 v[138:139], v[4:5], v[2:3]
	v_fma_f64 v[2:3], v[4:5], v[0:1], v[136:137]
	v_lshl_add_u32 v136, v167, 4, v196
	v_fma_f64 v[4:5], v[6:7], v[0:1], -v[138:139]
	s_waitcnt vmcnt(26)
	v_mul_f64 v[0:1], v[34:35], v[10:11]
	s_waitcnt vmcnt(25)
	v_mul_f64 v[6:7], v[36:37], v[14:15]
	ds_write_b128 v244, v[2:5]
	v_mul_f64 v[2:3], v[32:33], v[10:11]
	v_mul_f64 v[4:5], v[38:39], v[14:15]
	s_waitcnt vmcnt(24)
	v_mul_f64 v[10:11], v[42:43], v[18:19]
	v_mul_f64 v[14:15], v[40:41], v[18:19]
	s_waitcnt vmcnt(23)
	v_mul_f64 v[18:19], v[46:47], v[22:23]
	v_mul_f64 v[22:23], v[44:45], v[22:23]
	v_fma_f64 v[0:1], v[32:33], v[8:9], v[0:1]
	v_fma_f64 v[6:7], v[38:39], v[12:13], -v[6:7]
	v_fma_f64 v[2:3], v[34:35], v[8:9], -v[2:3]
	v_fma_f64 v[4:5], v[36:37], v[12:13], v[4:5]
	v_fma_f64 v[8:9], v[40:41], v[16:17], v[10:11]
	v_fma_f64 v[10:11], v[42:43], v[16:17], -v[14:15]
	v_fma_f64 v[12:13], v[44:45], v[20:21], v[18:19]
	s_waitcnt vmcnt(21)
	v_mul_f64 v[16:17], v[50:51], v[54:55]
	v_mul_f64 v[18:19], v[48:49], v[54:55]
	v_fma_f64 v[14:15], v[46:47], v[20:21], -v[22:23]
	s_waitcnt vmcnt(19)
	v_mul_f64 v[20:21], v[62:63], v[58:59]
	v_mul_f64 v[22:23], v[60:61], v[58:59]
	s_waitcnt vmcnt(17)
	v_mul_f64 v[32:33], v[66:67], v[70:71]
	v_mul_f64 v[34:35], v[64:65], v[70:71]
	;; [unrolled: 3-line block ×3, first 2 shown]
	v_fma_f64 v[16:17], v[48:49], v[52:53], v[16:17]
	v_fma_f64 v[18:19], v[50:51], v[52:53], -v[18:19]
	v_fma_f64 v[20:21], v[60:61], v[56:57], v[20:21]
	v_fma_f64 v[22:23], v[62:63], v[56:57], -v[22:23]
	;; [unrolled: 2-line block ×4, first 2 shown]
	ds_write_b128 v136, v[0:3] offset:512
	ds_write_b128 v136, v[4:7] offset:1024
	;; [unrolled: 1-line block ×8, first 2 shown]
	s_waitcnt vmcnt(13)
	v_mul_f64 v[0:1], v[82:83], v[86:87]
	v_mul_f64 v[2:3], v[80:81], v[86:87]
	s_waitcnt vmcnt(11)
	v_mul_f64 v[4:5], v[90:91], v[94:95]
	v_mul_f64 v[6:7], v[88:89], v[94:95]
	;; [unrolled: 3-line block ×5, first 2 shown]
	v_fma_f64 v[0:1], v[80:81], v[84:85], v[0:1]
	v_fma_f64 v[2:3], v[82:83], v[84:85], -v[2:3]
	v_fma_f64 v[4:5], v[88:89], v[92:93], v[4:5]
	s_waitcnt vmcnt(3)
	v_mul_f64 v[20:21], v[122:123], v[126:127]
	v_mul_f64 v[22:23], v[120:121], v[126:127]
	v_fma_f64 v[6:7], v[90:91], v[92:93], -v[6:7]
	v_fma_f64 v[8:9], v[96:97], v[100:101], v[8:9]
	v_fma_f64 v[10:11], v[98:99], v[100:101], -v[10:11]
	v_fma_f64 v[12:13], v[104:105], v[108:109], v[12:13]
	;; [unrolled: 2-line block ×4, first 2 shown]
	v_fma_f64 v[22:23], v[122:123], v[124:125], -v[22:23]
	s_waitcnt vmcnt(1)
	v_mul_f64 v[32:33], v[130:131], v[134:135]
	v_mul_f64 v[34:35], v[128:129], v[134:135]
	s_waitcnt vmcnt(0)
	v_mul_f64 v[36:37], v[26:27], v[30:31]
	v_mul_f64 v[38:39], v[24:25], v[30:31]
	v_fma_f64 v[30:31], v[128:129], v[132:133], v[32:33]
	v_fma_f64 v[32:33], v[130:131], v[132:133], -v[34:35]
	v_fma_f64 v[24:25], v[24:25], v[28:29], v[36:37]
	v_fma_f64 v[26:27], v[26:27], v[28:29], -v[38:39]
	ds_write_b128 v136, v[0:3] offset:4608
	ds_write_b128 v136, v[4:7] offset:5120
	;; [unrolled: 1-line block ×8, first 2 shown]
.LBB0_3:
	s_or_b64 exec, exec, s[20:21]
	s_load_dwordx2 s[0:1], s[4:5], 0x20
	s_load_dwordx2 s[2:3], s[4:5], 0x8
	v_lshlrev_b32_e32 v245, 4, v167
	s_waitcnt lgkmcnt(0)
	s_barrier
	s_waitcnt lgkmcnt(0)
                                        ; implicit-def: $vgpr4_vgpr5
                                        ; implicit-def: $vgpr8_vgpr9
                                        ; implicit-def: $vgpr12_vgpr13
                                        ; implicit-def: $vgpr48_vgpr49
                                        ; implicit-def: $vgpr56_vgpr57
                                        ; implicit-def: $vgpr52_vgpr53
                                        ; implicit-def: $vgpr44_vgpr45
                                        ; implicit-def: $vgpr40_vgpr41
                                        ; implicit-def: $vgpr36_vgpr37
                                        ; implicit-def: $vgpr32_vgpr33
                                        ; implicit-def: $vgpr28_vgpr29
                                        ; implicit-def: $vgpr24_vgpr25
                                        ; implicit-def: $vgpr16_vgpr17
                                        ; implicit-def: $vgpr20_vgpr21
                                        ; implicit-def: $vgpr60_vgpr61
                                        ; implicit-def: $vgpr64_vgpr65
                                        ; implicit-def: $vgpr68_vgpr69
	s_and_saveexec_b64 s[4:5], vcc
	s_cbranch_execz .LBB0_5
; %bb.4:
	v_lshl_add_u32 v0, v255, 4, v245
	ds_read_b128 v[4:7], v244
	ds_read_b128 v[68:71], v0 offset:512
	ds_read_b128 v[64:67], v0 offset:1024
	;; [unrolled: 1-line block ×16, first 2 shown]
.LBB0_5:
	s_or_b64 exec, exec, s[4:5]
	s_waitcnt lgkmcnt(0)
	v_add_f64 v[134:135], v[70:71], -v[58:59]
	v_add_f64 v[132:133], v[68:69], -v[56:57]
	s_mov_b32 s10, 0x5d8e7cdc
	s_mov_b32 s11, 0xbfd71e95
	v_add_f64 v[108:109], v[56:57], v[68:69]
	v_add_f64 v[156:157], v[58:59], v[70:71]
	v_add_f64 v[144:145], v[66:67], -v[50:51]
	v_add_f64 v[140:141], v[64:65], -v[48:49]
	v_mul_f64 v[110:111], v[134:135], s[10:11]
	v_mul_f64 v[112:113], v[132:133], s[10:11]
	s_mov_b32 s4, 0x370991
	s_mov_b32 s24, 0x2a9d6da3
	;; [unrolled: 1-line block ×4, first 2 shown]
	v_add_f64 v[114:115], v[48:49], v[64:65]
	v_add_f64 v[164:165], v[50:51], v[66:67]
	v_fma_f64 v[0:1], v[108:109], s[4:5], v[110:111]
	v_fma_f64 v[2:3], v[156:157], s[4:5], -v[112:113]
	v_mul_f64 v[116:117], v[144:145], s[24:25]
	v_mul_f64 v[118:119], v[140:141], s[24:25]
	v_add_f64 v[146:147], v[62:63], -v[54:55]
	v_add_f64 v[152:153], v[60:61], -v[52:53]
	s_mov_b32 s8, 0x75d4884
	s_mov_b32 s14, 0x7c9e640b
	s_mov_b32 s9, 0x3fe7a5f6
	s_mov_b32 s15, 0xbfeca52d
	v_add_f64 v[0:1], v[4:5], v[0:1]
	v_add_f64 v[2:3], v[6:7], v[2:3]
	v_fma_f64 v[72:73], v[114:115], s[8:9], v[116:117]
	v_fma_f64 v[74:75], v[164:165], s[8:9], -v[118:119]
	v_add_f64 v[120:121], v[52:53], v[60:61]
	v_add_f64 v[176:177], v[54:55], v[62:63]
	v_mul_f64 v[122:123], v[146:147], s[14:15]
	v_mul_f64 v[124:125], v[152:153], s[14:15]
	v_add_f64 v[160:161], v[22:23], -v[46:47]
	v_add_f64 v[158:159], v[20:21], -v[44:45]
	s_mov_b32 s6, 0x2b2883cd
	s_mov_b32 s34, 0xeb564b22
	s_mov_b32 s7, 0x3fdc86fa
	s_mov_b32 s35, 0xbfefdd0d
	v_add_f64 v[0:1], v[72:73], v[0:1]
	v_add_f64 v[2:3], v[74:75], v[2:3]
	v_fma_f64 v[72:73], v[120:121], s[6:7], v[122:123]
	v_fma_f64 v[74:75], v[176:177], s[6:7], -v[124:125]
	v_add_f64 v[126:127], v[44:45], v[20:21]
	v_add_f64 v[188:189], v[46:47], v[22:23]
	v_mul_f64 v[128:129], v[160:161], s[34:35]
	v_mul_f64 v[130:131], v[158:159], s[34:35]
	v_add_f64 v[174:175], v[18:19], -v[42:43]
	v_add_f64 v[168:169], v[16:17], -v[40:41]
	s_mov_b32 s22, 0x3259b75e
	s_mov_b32 s28, 0x923c349f
	s_mov_b32 s23, 0x3fb79ee6
	s_mov_b32 s29, 0xbfeec746
	v_add_f64 v[0:1], v[72:73], v[0:1]
	v_add_f64 v[2:3], v[74:75], v[2:3]
	v_fma_f64 v[72:73], v[126:127], s[22:23], v[128:129]
	v_fma_f64 v[74:75], v[188:189], s[22:23], -v[130:131]
	v_add_f64 v[136:137], v[40:41], v[16:17]
	v_add_f64 v[186:187], v[42:43], v[18:19]
	v_mul_f64 v[138:139], v[174:175], s[28:29]
	v_mul_f64 v[142:143], v[168:169], s[28:29]
	v_add_f64 v[184:185], v[10:11], -v[38:39]
	v_add_f64 v[180:181], v[8:9], -v[36:37]
	s_mov_b32 s20, 0xc61f0d01
	s_mov_b32 s36, 0x6c9a05f6
	s_mov_b32 s21, 0xbfd183b1
	s_mov_b32 s37, 0xbfe9895b
	v_add_f64 v[0:1], v[72:73], v[0:1]
	v_add_f64 v[2:3], v[74:75], v[2:3]
	v_fma_f64 v[72:73], v[136:137], s[20:21], v[138:139]
	v_fma_f64 v[74:75], v[186:187], s[20:21], -v[142:143]
	v_add_f64 v[148:149], v[8:9], v[36:37]
	v_add_f64 v[194:195], v[10:11], v[38:39]
	v_mul_f64 v[150:151], v[184:185], s[36:37]
	v_mul_f64 v[154:155], v[180:181], s[36:37]
	v_add_f64 v[192:193], v[26:27], -v[34:35]
	v_add_f64 v[190:191], v[24:25], -v[32:33]
	s_mov_b32 s26, 0x6ed5f1bb
	s_mov_b32 s40, 0x4363dd80
	s_mov_b32 s27, 0xbfe348c8
	s_mov_b32 s41, 0xbfe0d888
	v_add_f64 v[72:73], v[72:73], v[0:1]
	v_add_f64 v[2:3], v[74:75], v[2:3]
	v_fma_f64 v[74:75], v[148:149], s[26:27], v[150:151]
	v_fma_f64 v[76:77], v[194:195], s[26:27], -v[154:155]
	v_add_f64 v[162:163], v[32:33], v[24:25]
	v_add_f64 v[201:202], v[34:35], v[26:27]
	v_mul_f64 v[0:1], v[192:193], s[40:41]
	v_mul_f64 v[170:171], v[190:191], s[40:41]
	v_add_f64 v[199:200], v[30:31], -v[14:15]
	v_add_f64 v[197:198], v[28:29], -v[12:13]
	s_mov_b32 s30, 0x910ea3b9
	s_mov_b32 s42, 0xacd6c6b4
	s_mov_b32 s31, 0xbfeb34fa
	s_mov_b32 s43, 0xbfc7851a
	v_add_f64 v[72:73], v[74:75], v[72:73]
	v_add_f64 v[2:3], v[76:77], v[2:3]
	v_fma_f64 v[74:75], v[162:163], s[30:31], v[0:1]
	v_fma_f64 v[76:77], v[201:202], s[30:31], -v[170:171]
	v_add_f64 v[172:173], v[12:13], v[28:29]
	v_add_f64 v[203:204], v[14:15], v[30:31]
	v_mul_f64 v[178:179], v[199:200], s[42:43]
	v_mul_f64 v[182:183], v[197:198], s[42:43]
	s_mov_b32 s38, 0x7faef3
	s_mov_b32 s39, 0xbfef7484
	v_add_f64 v[72:73], v[74:75], v[72:73]
	v_add_f64 v[2:3], v[76:77], v[2:3]
	s_barrier
	v_fma_f64 v[74:75], v[172:173], s[38:39], v[178:179]
	v_fma_f64 v[76:77], v[203:204], s[38:39], -v[182:183]
	v_add_f64 v[246:247], v[74:75], v[72:73]
	v_add_f64 v[248:249], v[76:77], v[2:3]
	s_and_saveexec_b64 s[12:13], vcc
	s_cbranch_execz .LBB0_7
; %bb.6:
	v_mul_f64 v[2:3], v[156:157], s[38:39]
	s_mov_b32 s53, 0x3fc7851a
	s_mov_b32 s52, s42
	v_mul_f64 v[74:75], v[164:165], s[4:5]
	v_mul_f64 v[84:85], v[176:177], s[30:31]
	;; [unrolled: 1-line block ×3, first 2 shown]
	s_mov_b32 s47, 0x3fe0d888
	s_mov_b32 s46, s40
	v_fma_f64 v[78:79], v[132:133], s[52:53], v[2:3]
	s_mov_b32 s49, 0x3fd71e95
	s_mov_b32 s48, s10
	v_fma_f64 v[88:89], v[140:141], s[10:11], v[74:75]
	v_mul_f64 v[86:87], v[188:189], s[8:9]
	v_fma_f64 v[92:93], v[152:153], s[46:47], v[84:85]
	v_fma_f64 v[94:95], v[108:109], s[38:39], v[90:91]
	s_mov_b32 s57, 0x3fe58eea
	v_add_f64 v[78:79], v[6:7], v[78:79]
	s_mov_b32 s56, s24
	v_fma_f64 v[2:3], v[132:133], s[42:43], v[2:3]
	v_mul_f64 v[104:105], v[160:161], s[56:57]
	v_fma_f64 v[98:99], v[158:159], s[24:25], v[86:87]
	v_fma_f64 v[90:91], v[108:109], s[38:39], -v[90:91]
	v_add_f64 v[94:95], v[4:5], v[94:95]
	v_mul_f64 v[82:83], v[186:187], s[26:27]
	v_add_f64 v[78:79], v[88:89], v[78:79]
	v_mul_f64 v[88:89], v[144:145], s[48:49]
	v_mul_f64 v[96:97], v[174:175], s[36:37]
	v_fma_f64 v[74:75], v[140:141], s[48:49], v[74:75]
	v_add_f64 v[2:3], v[6:7], v[2:3]
	v_fma_f64 v[205:206], v[126:127], s[8:9], v[104:105]
	v_add_f64 v[90:91], v[4:5], v[90:91]
	s_mov_b32 s55, 0x3fe9895b
	v_add_f64 v[78:79], v[92:93], v[78:79]
	v_mul_f64 v[92:93], v[146:147], s[40:41]
	v_fma_f64 v[100:101], v[114:115], s[4:5], v[88:89]
	v_fma_f64 v[88:89], v[114:115], s[4:5], -v[88:89]
	s_mov_b32 s54, s36
	s_mov_b32 s51, 0x3feca52d
	;; [unrolled: 1-line block ×3, first 2 shown]
	v_mul_f64 v[80:81], v[194:195], s[6:7]
	v_add_f64 v[78:79], v[98:99], v[78:79]
	v_fma_f64 v[98:99], v[120:121], s[30:31], v[92:93]
	v_add_f64 v[94:95], v[100:101], v[94:95]
	v_mul_f64 v[102:103], v[184:185], s[50:51]
	v_fma_f64 v[106:107], v[168:169], s[54:55], v[82:83]
	v_fma_f64 v[84:85], v[152:153], s[40:41], v[84:85]
	v_add_f64 v[2:3], v[74:75], v[2:3]
	v_add_f64 v[88:89], v[88:89], v[90:91]
	v_mul_f64 v[72:73], v[201:202], s[20:21]
	v_fma_f64 v[100:101], v[180:181], s[14:15], v[80:81]
	v_add_f64 v[94:95], v[98:99], v[94:95]
	v_fma_f64 v[98:99], v[136:137], s[26:27], v[96:97]
	v_add_f64 v[78:79], v[106:107], v[78:79]
	v_fma_f64 v[92:93], v[120:121], s[30:31], -v[92:93]
	v_fma_f64 v[86:87], v[158:159], s[56:57], v[86:87]
	v_add_f64 v[2:3], v[84:85], v[2:3]
	v_mul_f64 v[84:85], v[192:193], s[28:29]
	s_mov_b32 s45, 0x3feec746
	v_add_f64 v[90:91], v[205:206], v[94:95]
	v_fma_f64 v[94:95], v[148:149], s[6:7], v[102:103]
	s_mov_b32 s44, s28
	s_mov_b32 s59, 0x3fefdd0d
	;; [unrolled: 1-line block ×3, first 2 shown]
	v_fma_f64 v[74:75], v[190:191], s[44:45], v[72:73]
	v_add_f64 v[78:79], v[100:101], v[78:79]
	v_fma_f64 v[100:101], v[126:127], s[8:9], -v[104:105]
	v_add_f64 v[90:91], v[98:99], v[90:91]
	v_add_f64 v[88:89], v[92:93], v[88:89]
	v_fma_f64 v[82:83], v[168:169], s[36:37], v[82:83]
	v_add_f64 v[2:3], v[86:87], v[2:3]
	v_mul_f64 v[86:87], v[199:200], s[58:59]
	v_fma_f64 v[92:93], v[162:163], s[20:21], v[84:85]
	v_mul_f64 v[76:77], v[203:204], s[22:23]
	v_fma_f64 v[96:97], v[136:137], s[26:27], -v[96:97]
	v_add_f64 v[90:91], v[94:95], v[90:91]
	v_add_f64 v[88:89], v[100:101], v[88:89]
	v_fma_f64 v[80:81], v[180:181], s[50:51], v[80:81]
	v_add_f64 v[2:3], v[82:83], v[2:3]
	v_add_f64 v[74:75], v[74:75], v[78:79]
	v_fma_f64 v[78:79], v[172:173], s[22:23], v[86:87]
	v_fma_f64 v[82:83], v[197:198], s[34:35], v[76:77]
	v_fma_f64 v[94:95], v[148:149], s[6:7], -v[102:103]
	v_add_f64 v[90:91], v[92:93], v[90:91]
	v_add_f64 v[88:89], v[96:97], v[88:89]
	v_fma_f64 v[92:93], v[190:191], s[28:29], v[72:73]
	v_add_f64 v[2:3], v[80:81], v[2:3]
	v_fma_f64 v[80:81], v[162:163], s[20:21], -v[84:85]
	v_mul_f64 v[106:107], v[176:177], s[22:23]
	v_add_f64 v[74:75], v[82:83], v[74:75]
	v_mul_f64 v[102:103], v[144:145], s[50:51]
	v_add_f64 v[72:73], v[78:79], v[90:91]
	;; [unrolled: 2-line block ×3, first 2 shown]
	v_add_f64 v[2:3], v[92:93], v[2:3]
	v_mul_f64 v[92:93], v[164:165], s[6:7]
	v_mul_f64 v[207:208], v[188:189], s[26:27]
	v_fma_f64 v[215:216], v[152:153], s[58:59], v[106:107]
	v_mul_f64 v[98:99], v[186:187], s[4:5]
	v_mul_f64 v[211:212], v[146:147], s[34:35]
	v_fma_f64 v[94:95], v[132:133], s[46:47], v[78:79]
	v_add_f64 v[80:81], v[80:81], v[82:83]
	v_mul_f64 v[82:83], v[134:135], s[40:41]
	v_fma_f64 v[205:206], v[140:141], s[14:15], v[92:93]
	v_fma_f64 v[78:79], v[132:133], s[40:41], v[78:79]
	;; [unrolled: 1-line block ×4, first 2 shown]
	v_fma_f64 v[102:103], v[114:115], s[6:7], -v[102:103]
	v_add_f64 v[94:95], v[6:7], v[94:95]
	v_mul_f64 v[88:89], v[194:195], s[38:39]
	v_fma_f64 v[104:105], v[108:109], s[30:31], v[82:83]
	v_fma_f64 v[82:83], v[108:109], s[30:31], -v[82:83]
	v_add_f64 v[78:79], v[6:7], v[78:79]
	v_fma_f64 v[209:210], v[168:169], s[48:49], v[98:99]
	v_mul_f64 v[217:218], v[160:161], s[54:55]
	v_fma_f64 v[219:220], v[120:121], s[22:23], v[211:212]
	v_add_f64 v[94:95], v[205:206], v[94:95]
	v_fma_f64 v[205:206], v[158:159], s[36:37], v[207:208]
	v_add_f64 v[104:105], v[4:5], v[104:105]
	v_add_f64 v[82:83], v[4:5], v[82:83]
	v_fma_f64 v[106:107], v[152:153], s[34:35], v[106:107]
	v_add_f64 v[78:79], v[92:93], v[78:79]
	v_fma_f64 v[100:101], v[180:181], s[52:53], v[88:89]
	v_fma_f64 v[76:77], v[197:198], s[58:59], v[76:77]
	v_add_f64 v[94:95], v[215:216], v[94:95]
	v_fma_f64 v[215:216], v[126:127], s[26:27], v[217:218]
	v_add_f64 v[104:105], v[213:214], v[104:105]
	v_add_f64 v[82:83], v[102:103], v[82:83]
	v_mul_f64 v[213:214], v[174:175], s[10:11]
	v_add_f64 v[78:79], v[106:107], v[78:79]
	v_fma_f64 v[106:107], v[126:127], s[26:27], -v[217:218]
	v_mul_f64 v[102:103], v[184:185], s[42:43]
	v_add_f64 v[92:93], v[205:206], v[94:95]
	v_fma_f64 v[94:95], v[120:121], s[22:23], -v[211:212]
	v_add_f64 v[104:105], v[219:220], v[104:105]
	v_mul_f64 v[84:85], v[201:202], s[8:9]
	v_fma_f64 v[205:206], v[136:137], s[4:5], v[213:214]
	v_fma_f64 v[207:208], v[158:159], s[54:55], v[207:208]
	v_fma_f64 v[86:87], v[172:173], s[22:23], -v[86:87]
	v_mul_f64 v[90:91], v[203:204], s[20:21]
	v_add_f64 v[92:93], v[209:210], v[92:93]
	v_add_f64 v[82:83], v[94:95], v[82:83]
	;; [unrolled: 1-line block ×3, first 2 shown]
	v_mul_f64 v[94:95], v[192:193], s[56:57]
	v_fma_f64 v[209:210], v[148:149], s[38:39], v[102:103]
	v_fma_f64 v[102:103], v[148:149], s[38:39], -v[102:103]
	v_fma_f64 v[96:97], v[190:191], s[24:25], v[84:85]
	v_fma_f64 v[98:99], v[168:169], s[10:11], v[98:99]
	v_add_f64 v[92:93], v[100:101], v[92:93]
	v_fma_f64 v[100:101], v[136:137], s[4:5], -v[213:214]
	v_add_f64 v[82:83], v[106:107], v[82:83]
	v_add_f64 v[104:105], v[205:206], v[104:105]
	v_mul_f64 v[106:107], v[199:200], s[28:29]
	v_fma_f64 v[205:206], v[162:163], s[8:9], v[94:95]
	v_add_f64 v[78:79], v[207:208], v[78:79]
	v_add_f64 v[80:81], v[86:87], v[80:81]
	;; [unrolled: 1-line block ×3, first 2 shown]
	v_fma_f64 v[86:87], v[197:198], s[28:29], v[90:91]
	v_add_f64 v[100:101], v[100:101], v[82:83]
	v_add_f64 v[104:105], v[209:210], v[104:105]
	;; [unrolled: 1-line block ×3, first 2 shown]
	v_fma_f64 v[2:3], v[162:163], s[8:9], -v[94:95]
	v_fma_f64 v[96:97], v[172:173], s[20:21], v[106:107]
	v_add_f64 v[78:79], v[98:99], v[78:79]
	v_fma_f64 v[98:99], v[197:198], s[44:45], v[90:91]
	v_fma_f64 v[90:91], v[172:173], s[20:21], -v[106:107]
	v_add_f64 v[94:95], v[102:103], v[100:101]
	v_add_f64 v[104:105], v[205:206], v[104:105]
	v_mul_f64 v[106:107], v[164:165], s[20:21]
	v_mul_f64 v[209:210], v[176:177], s[4:5]
	;; [unrolled: 1-line block ×3, first 2 shown]
	v_fma_f64 v[88:89], v[180:181], s[42:43], v[88:89]
	v_mul_f64 v[100:101], v[188:189], s[30:31]
	v_mul_f64 v[223:224], v[146:147], s[10:11]
	v_add_f64 v[2:3], v[2:3], v[94:95]
	v_mul_f64 v[94:95], v[156:157], s[26:27]
	v_add_f64 v[76:77], v[96:97], v[104:105]
	v_mul_f64 v[104:105], v[134:135], s[36:37]
	v_fma_f64 v[219:220], v[140:141], s[28:29], v[106:107]
	v_fma_f64 v[221:222], v[152:153], s[48:49], v[209:210]
	;; [unrolled: 1-line block ×4, first 2 shown]
	v_fma_f64 v[215:216], v[114:115], s[20:21], -v[215:216]
	v_fma_f64 v[207:208], v[132:133], s[54:55], v[94:95]
	v_fma_f64 v[94:95], v[132:133], s[36:37], v[94:95]
	;; [unrolled: 1-line block ×3, first 2 shown]
	v_fma_f64 v[104:105], v[108:109], s[26:27], -v[104:105]
	v_add_f64 v[88:89], v[88:89], v[78:79]
	v_add_f64 v[78:79], v[98:99], v[92:93]
	v_mul_f64 v[98:99], v[186:187], s[22:23]
	v_fma_f64 v[213:214], v[158:159], s[46:47], v[100:101]
	v_add_f64 v[207:208], v[6:7], v[207:208]
	v_add_f64 v[94:95], v[6:7], v[94:95]
	;; [unrolled: 1-line block ×4, first 2 shown]
	v_fma_f64 v[209:210], v[152:153], s[10:11], v[209:210]
	v_mul_f64 v[92:93], v[194:195], s[8:9]
	v_fma_f64 v[211:212], v[168:169], s[34:35], v[98:99]
	v_fma_f64 v[227:228], v[120:121], s[4:5], v[223:224]
	v_add_f64 v[207:208], v[219:220], v[207:208]
	v_mul_f64 v[219:220], v[160:161], s[40:41]
	v_add_f64 v[94:95], v[106:107], v[94:95]
	v_add_f64 v[104:105], v[215:216], v[104:105]
	;; [unrolled: 1-line block ×3, first 2 shown]
	v_mul_f64 v[215:216], v[174:175], s[58:59]
	v_fma_f64 v[100:101], v[158:159], s[40:41], v[100:101]
	v_fma_f64 v[84:85], v[190:191], s[56:57], v[84:85]
	v_add_f64 v[106:107], v[221:222], v[207:208]
	v_fma_f64 v[207:208], v[120:121], s[4:5], -v[223:224]
	v_add_f64 v[94:95], v[209:210], v[94:95]
	v_fma_f64 v[209:210], v[126:127], s[30:31], -v[219:220]
	v_fma_f64 v[205:206], v[180:181], s[56:57], v[92:93]
	v_fma_f64 v[221:222], v[126:127], s[30:31], v[219:220]
	v_add_f64 v[217:218], v[227:228], v[217:218]
	v_fma_f64 v[98:99], v[168:169], s[58:59], v[98:99]
	v_add_f64 v[106:107], v[213:214], v[106:107]
	v_add_f64 v[104:105], v[207:208], v[104:105]
	v_mul_f64 v[207:208], v[184:185], s[24:25]
	v_add_f64 v[94:95], v[100:101], v[94:95]
	v_add_f64 v[84:85], v[84:85], v[88:89]
	v_mul_f64 v[88:89], v[201:202], s[38:39]
	v_fma_f64 v[213:214], v[136:137], s[22:23], v[215:216]
	v_add_f64 v[217:218], v[221:222], v[217:218]
	v_add_f64 v[100:101], v[211:212], v[106:107]
	v_fma_f64 v[106:107], v[136:137], s[22:23], -v[215:216]
	v_add_f64 v[104:105], v[209:210], v[104:105]
	v_mul_f64 v[209:210], v[192:193], s[42:43]
	v_fma_f64 v[92:93], v[180:181], s[24:25], v[92:93]
	v_add_f64 v[94:95], v[98:99], v[94:95]
	v_mul_f64 v[96:97], v[203:204], s[6:7]
	v_fma_f64 v[102:103], v[190:191], s[52:53], v[88:89]
	v_add_f64 v[98:99], v[205:206], v[100:101]
	v_fma_f64 v[100:101], v[148:149], s[8:9], -v[207:208]
	v_add_f64 v[104:105], v[106:107], v[104:105]
	v_fma_f64 v[211:212], v[148:149], s[8:9], v[207:208]
	v_add_f64 v[213:214], v[213:214], v[217:218]
	v_mul_f64 v[106:107], v[199:200], s[50:51]
	v_fma_f64 v[205:206], v[162:163], s[38:39], v[209:210]
	v_fma_f64 v[88:89], v[190:191], s[42:43], v[88:89]
	v_add_f64 v[92:93], v[92:93], v[94:95]
	v_fma_f64 v[209:210], v[162:163], s[38:39], -v[209:210]
	v_add_f64 v[100:101], v[100:101], v[104:105]
	v_fma_f64 v[94:95], v[197:198], s[14:15], v[96:97]
	v_add_f64 v[207:208], v[211:212], v[213:214]
	v_add_f64 v[98:99], v[102:103], v[98:99]
	v_fma_f64 v[102:103], v[172:173], s[6:7], v[106:107]
	v_fma_f64 v[96:97], v[197:198], s[50:51], v[96:97]
	v_add_f64 v[92:93], v[88:89], v[92:93]
	v_fma_f64 v[106:107], v[172:173], s[6:7], -v[106:107]
	v_add_f64 v[100:101], v[209:210], v[100:101]
	v_add_f64 v[86:87], v[86:87], v[84:85]
	;; [unrolled: 1-line block ×4, first 2 shown]
	v_mul_f64 v[2:3], v[156:157], s[20:21]
	v_add_f64 v[90:91], v[94:95], v[98:99]
	v_add_f64 v[94:95], v[96:97], v[92:93]
	v_mul_f64 v[98:99], v[164:165], s[30:31]
	v_add_f64 v[92:93], v[106:107], v[100:101]
	v_mul_f64 v[100:101], v[134:135], s[28:29]
	;; [unrolled: 2-line block ×3, first 2 shown]
	v_fma_f64 v[102:103], v[132:133], s[44:45], v[2:3]
	v_mul_f64 v[205:206], v[176:177], s[8:9]
	v_fma_f64 v[2:3], v[132:133], s[28:29], v[2:3]
	v_fma_f64 v[209:210], v[140:141], s[40:41], v[98:99]
	v_mul_f64 v[221:222], v[146:147], s[56:57]
	v_fma_f64 v[213:214], v[108:109], s[20:21], v[100:101]
	v_mul_f64 v[217:218], v[188:189], s[6:7]
	v_fma_f64 v[223:224], v[114:115], s[30:31], v[211:212]
	v_add_f64 v[102:103], v[6:7], v[102:103]
	v_fma_f64 v[219:220], v[152:153], s[24:25], v[205:206]
	v_fma_f64 v[98:99], v[140:141], s[46:47], v[98:99]
	v_add_f64 v[2:3], v[6:7], v[2:3]
	v_mul_f64 v[227:228], v[160:161], s[14:15]
	v_add_f64 v[213:214], v[4:5], v[213:214]
	v_fma_f64 v[229:230], v[120:121], s[8:9], v[221:222]
	v_fma_f64 v[225:226], v[158:159], s[50:51], v[217:218]
	v_add_f64 v[102:103], v[209:210], v[102:103]
	v_mul_f64 v[209:210], v[186:187], s[38:39]
	v_fma_f64 v[205:206], v[152:153], s[56:57], v[205:206]
	v_fma_f64 v[100:101], v[108:109], s[20:21], -v[100:101]
	v_add_f64 v[2:3], v[98:99], v[2:3]
	v_add_f64 v[213:214], v[223:224], v[213:214]
	v_mul_f64 v[98:99], v[174:175], s[42:43]
	v_fma_f64 v[223:224], v[126:127], s[6:7], v[227:228]
	v_add_f64 v[102:103], v[219:220], v[102:103]
	v_mul_f64 v[104:105], v[194:195], s[22:23]
	v_fma_f64 v[219:220], v[168:169], s[52:53], v[209:210]
	v_fma_f64 v[217:218], v[158:159], s[14:15], v[217:218]
	v_fma_f64 v[211:212], v[114:115], s[30:31], -v[211:212]
	v_add_f64 v[213:214], v[229:230], v[213:214]
	v_add_f64 v[100:101], v[4:5], v[100:101]
	;; [unrolled: 1-line block ×4, first 2 shown]
	v_mul_f64 v[205:206], v[184:185], s[58:59]
	v_fma_f64 v[225:226], v[136:137], s[38:39], v[98:99]
	v_mul_f64 v[96:97], v[201:202], s[4:5]
	v_fma_f64 v[215:216], v[180:181], s[34:35], v[104:105]
	v_add_f64 v[213:214], v[223:224], v[213:214]
	v_fma_f64 v[209:210], v[168:169], s[42:43], v[209:210]
	v_add_f64 v[100:101], v[211:212], v[100:101]
	v_add_f64 v[102:103], v[219:220], v[102:103]
	v_fma_f64 v[219:220], v[120:121], s[8:9], -v[221:222]
	v_add_f64 v[2:3], v[217:218], v[2:3]
	v_mul_f64 v[211:212], v[192:193], s[10:11]
	v_fma_f64 v[217:218], v[148:149], s[22:23], v[205:206]
	v_add_f64 v[213:214], v[225:226], v[213:214]
	v_fma_f64 v[207:208], v[190:191], s[48:49], v[96:97]
	v_fma_f64 v[104:105], v[180:181], s[58:59], v[104:105]
	v_add_f64 v[102:103], v[215:216], v[102:103]
	v_fma_f64 v[215:216], v[126:127], s[6:7], -v[227:228]
	v_add_f64 v[100:101], v[219:220], v[100:101]
	v_add_f64 v[2:3], v[209:210], v[2:3]
	v_mul_f64 v[209:210], v[199:200], s[36:37]
	v_fma_f64 v[219:220], v[162:163], s[4:5], v[211:212]
	v_add_f64 v[213:214], v[217:218], v[213:214]
	v_mul_f64 v[106:107], v[203:204], s[26:27]
	v_fma_f64 v[96:97], v[190:191], s[10:11], v[96:97]
	v_fma_f64 v[98:99], v[136:137], s[38:39], -v[98:99]
	v_add_f64 v[100:101], v[215:216], v[100:101]
	v_add_f64 v[2:3], v[104:105], v[2:3]
	;; [unrolled: 1-line block ×3, first 2 shown]
	v_fma_f64 v[104:105], v[172:173], s[26:27], v[209:210]
	v_add_f64 v[207:208], v[219:220], v[213:214]
	v_fma_f64 v[217:218], v[197:198], s[54:55], v[106:107]
	v_mul_f64 v[213:214], v[156:157], s[22:23]
	v_fma_f64 v[205:206], v[148:149], s[22:23], -v[205:206]
	v_add_f64 v[100:101], v[98:99], v[100:101]
	v_add_f64 v[2:3], v[96:97], v[2:3]
	v_fma_f64 v[106:107], v[197:198], s[36:37], v[106:107]
	v_mul_f64 v[215:216], v[164:165], s[38:39]
	v_add_f64 v[96:97], v[104:105], v[207:208]
	v_mul_f64 v[104:105], v[134:135], s[34:35]
	v_add_f64 v[98:99], v[217:218], v[102:103]
	v_fma_f64 v[207:208], v[132:133], s[58:59], v[213:214]
	v_add_f64 v[100:101], v[205:206], v[100:101]
	v_mul_f64 v[205:206], v[144:145], s[42:43]
	v_fma_f64 v[211:212], v[162:163], s[4:5], -v[211:212]
	v_add_f64 v[102:103], v[106:107], v[2:3]
	v_mul_f64 v[2:3], v[176:177], s[20:21]
	v_fma_f64 v[217:218], v[108:109], s[22:23], v[104:105]
	v_fma_f64 v[106:107], v[140:141], s[52:53], v[215:216]
	v_add_f64 v[207:208], v[6:7], v[207:208]
	v_mul_f64 v[221:222], v[146:147], s[44:45]
	v_fma_f64 v[223:224], v[114:115], s[38:39], v[205:206]
	v_add_f64 v[100:101], v[211:212], v[100:101]
	v_mul_f64 v[211:212], v[188:189], s[4:5]
	v_fma_f64 v[219:220], v[152:153], s[28:29], v[2:3]
	v_add_f64 v[217:218], v[4:5], v[217:218]
	v_fma_f64 v[213:214], v[132:133], s[34:35], v[213:214]
	v_add_f64 v[106:107], v[106:107], v[207:208]
	v_mul_f64 v[229:230], v[160:161], s[48:49]
	v_fma_f64 v[231:232], v[120:121], s[20:21], v[221:222]
	v_mul_f64 v[225:226], v[186:187], s[6:7]
	v_fma_f64 v[227:228], v[158:159], s[10:11], v[211:212]
	v_fma_f64 v[215:216], v[140:141], s[42:43], v[215:216]
	v_add_f64 v[217:218], v[223:224], v[217:218]
	v_add_f64 v[213:214], v[6:7], v[213:214]
	;; [unrolled: 1-line block ×3, first 2 shown]
	v_mul_f64 v[233:234], v[174:175], s[14:15]
	v_fma_f64 v[235:236], v[126:127], s[4:5], v[229:230]
	v_mul_f64 v[219:220], v[194:195], s[30:31]
	v_fma_f64 v[223:224], v[168:169], s[50:51], v[225:226]
	v_fma_f64 v[2:3], v[152:153], s[44:45], v[2:3]
	v_add_f64 v[217:218], v[231:232], v[217:218]
	v_add_f64 v[213:214], v[215:216], v[213:214]
	;; [unrolled: 1-line block ×3, first 2 shown]
	v_mul_f64 v[215:216], v[184:185], s[40:41]
	v_fma_f64 v[237:238], v[136:137], s[6:7], v[233:234]
	v_fma_f64 v[231:232], v[180:181], s[46:47], v[219:220]
	v_fma_f64 v[104:105], v[108:109], s[22:23], -v[104:105]
	v_fma_f64 v[211:212], v[158:159], s[48:49], v[211:212]
	v_add_f64 v[217:218], v[235:236], v[217:218]
	v_add_f64 v[2:3], v[2:3], v[213:214]
	;; [unrolled: 1-line block ×3, first 2 shown]
	v_mul_f64 v[213:214], v[192:193], s[54:55]
	v_fma_f64 v[235:236], v[148:149], s[30:31], v[215:216]
	v_mul_f64 v[227:228], v[201:202], s[26:27]
	v_fma_f64 v[205:206], v[114:115], s[38:39], -v[205:206]
	v_add_f64 v[104:105], v[4:5], v[104:105]
	v_add_f64 v[217:218], v[237:238], v[217:218]
	v_fma_f64 v[225:226], v[168:169], s[14:15], v[225:226]
	v_add_f64 v[106:107], v[231:232], v[106:107]
	v_add_f64 v[2:3], v[211:212], v[2:3]
	v_mul_f64 v[211:212], v[199:200], s[56:57]
	v_fma_f64 v[231:232], v[162:163], s[26:27], v[213:214]
	v_fma_f64 v[209:210], v[172:173], s[26:27], -v[209:210]
	v_fma_f64 v[223:224], v[190:191], s[36:37], v[227:228]
	v_add_f64 v[217:218], v[235:236], v[217:218]
	v_fma_f64 v[221:222], v[120:121], s[20:21], -v[221:222]
	v_add_f64 v[104:105], v[205:206], v[104:105]
	v_fma_f64 v[205:206], v[180:181], s[40:41], v[219:220]
	v_add_f64 v[2:3], v[225:226], v[2:3]
	v_fma_f64 v[219:220], v[172:173], s[8:9], v[211:212]
	v_add_f64 v[100:101], v[209:210], v[100:101]
	v_add_f64 v[106:107], v[223:224], v[106:107]
	;; [unrolled: 1-line block ×3, first 2 shown]
	v_fma_f64 v[209:210], v[126:127], s[4:5], -v[229:230]
	v_add_f64 v[221:222], v[221:222], v[104:105]
	v_fma_f64 v[223:224], v[190:191], s[54:55], v[227:228]
	v_add_f64 v[2:3], v[205:206], v[2:3]
	v_mul_f64 v[225:226], v[156:157], s[6:7]
	v_mul_f64 v[207:208], v[203:204], s[8:9]
	v_fma_f64 v[205:206], v[136:137], s[6:7], -v[233:234]
	v_add_f64 v[104:105], v[219:220], v[217:218]
	v_mul_f64 v[217:218], v[134:135], s[14:15]
	v_add_f64 v[209:210], v[209:210], v[221:222]
	v_mul_f64 v[219:220], v[164:165], s[26:27]
	v_add_f64 v[2:3], v[223:224], v[2:3]
	v_fma_f64 v[221:222], v[132:133], s[50:51], v[225:226]
	v_mul_f64 v[223:224], v[144:145], s[36:37]
	v_fma_f64 v[235:236], v[197:198], s[24:25], v[207:208]
	v_fma_f64 v[207:208], v[197:198], s[56:57], v[207:208]
	;; [unrolled: 1-line block ×3, first 2 shown]
	v_fma_f64 v[215:216], v[148:149], s[30:31], -v[215:216]
	v_add_f64 v[205:206], v[205:206], v[209:210]
	v_mul_f64 v[209:210], v[176:177], s[38:39]
	v_fma_f64 v[229:230], v[140:141], s[54:55], v[219:220]
	v_add_f64 v[221:222], v[6:7], v[221:222]
	v_mul_f64 v[231:232], v[146:147], s[52:53]
	v_fma_f64 v[233:234], v[114:115], s[26:27], v[223:224]
	v_add_f64 v[227:228], v[4:5], v[227:228]
	v_add_f64 v[106:107], v[235:236], v[106:107]
	v_fma_f64 v[213:214], v[162:163], s[26:27], -v[213:214]
	v_add_f64 v[205:206], v[215:216], v[205:206]
	v_mul_f64 v[215:216], v[188:189], s[20:21]
	v_fma_f64 v[235:236], v[152:153], s[42:43], v[209:210]
	v_add_f64 v[221:222], v[229:230], v[221:222]
	v_mul_f64 v[229:230], v[160:161], s[44:45]
	v_fma_f64 v[237:238], v[120:121], s[38:39], v[231:232]
	v_add_f64 v[227:228], v[233:234], v[227:228]
	v_add_f64 v[207:208], v[207:208], v[2:3]
	v_fma_f64 v[2:3], v[132:133], s[14:15], v[225:226]
	v_fma_f64 v[211:212], v[172:173], s[8:9], -v[211:212]
	v_add_f64 v[205:206], v[213:214], v[205:206]
	v_mul_f64 v[213:214], v[186:187], s[8:9]
	v_fma_f64 v[233:234], v[158:159], s[28:29], v[215:216]
	v_add_f64 v[221:222], v[235:236], v[221:222]
	v_mul_f64 v[235:236], v[174:175], s[56:57]
	v_fma_f64 v[239:240], v[126:127], s[20:21], v[229:230]
	v_add_f64 v[227:228], v[237:238], v[227:228]
	v_fma_f64 v[219:220], v[140:141], s[36:37], v[219:220]
	v_add_f64 v[2:3], v[6:7], v[2:3]
	v_fma_f64 v[217:218], v[108:109], s[6:7], -v[217:218]
	v_add_f64 v[205:206], v[211:212], v[205:206]
	v_mul_f64 v[225:226], v[194:195], s[4:5]
	v_fma_f64 v[211:212], v[168:169], s[24:25], v[213:214]
	v_add_f64 v[221:222], v[233:234], v[221:222]
	v_fma_f64 v[233:234], v[136:137], s[8:9], v[235:236]
	v_add_f64 v[227:228], v[239:240], v[227:228]
	v_mul_f64 v[237:238], v[184:185], s[10:11]
	v_add_f64 v[2:3], v[219:220], v[2:3]
	v_fma_f64 v[209:210], v[152:153], s[52:53], v[209:210]
	v_fma_f64 v[223:224], v[114:115], s[26:27], -v[223:224]
	v_add_f64 v[217:218], v[4:5], v[217:218]
	v_mul_f64 v[239:240], v[201:202], s[22:23]
	v_add_f64 v[211:212], v[211:212], v[221:222]
	v_fma_f64 v[221:222], v[180:181], s[48:49], v[225:226]
	v_add_f64 v[227:228], v[233:234], v[227:228]
	v_fma_f64 v[233:234], v[148:149], s[4:5], v[237:238]
	;; [unrolled: 2-line block ×3, first 2 shown]
	v_add_f64 v[217:218], v[223:224], v[217:218]
	v_fma_f64 v[231:232], v[120:121], s[38:39], -v[231:232]
	v_fma_f64 v[213:214], v[168:169], s[56:57], v[213:214]
	v_add_f64 v[211:212], v[221:222], v[211:212]
	v_mul_f64 v[221:222], v[203:204], s[30:31]
	v_add_f64 v[227:228], v[233:234], v[227:228]
	v_fma_f64 v[233:234], v[190:191], s[58:59], v[239:240]
	v_add_f64 v[2:3], v[215:216], v[2:3]
	v_fma_f64 v[229:230], v[126:127], s[20:21], -v[229:230]
	v_add_f64 v[217:218], v[231:232], v[217:218]
	v_add_f64 v[70:71], v[6:7], v[70:71]
	v_fma_f64 v[225:226], v[180:181], s[10:11], v[225:226]
	v_fma_f64 v[235:236], v[136:137], s[8:9], -v[235:236]
	v_add_f64 v[68:69], v[4:5], v[68:69]
	v_add_f64 v[211:212], v[233:234], v[211:212]
	v_fma_f64 v[233:234], v[197:198], s[46:47], v[221:222]
	v_add_f64 v[2:3], v[213:214], v[2:3]
	v_add_f64 v[217:218], v[229:230], v[217:218]
	;; [unrolled: 1-line block ×3, first 2 shown]
	v_mul_f64 v[70:71], v[156:157], s[8:9]
	v_fma_f64 v[239:240], v[190:191], s[34:35], v[239:240]
	v_add_f64 v[64:65], v[64:65], v[68:69]
	v_mul_f64 v[219:220], v[192:193], s[34:35]
	v_add_f64 v[211:212], v[233:234], v[211:212]
	v_mul_f64 v[233:234], v[164:165], s[8:9]
	v_add_f64 v[2:3], v[225:226], v[2:3]
	v_add_f64 v[217:218], v[235:236], v[217:218]
	v_fma_f64 v[235:236], v[148:149], s[4:5], -v[237:238]
	v_mul_f64 v[164:165], v[164:165], s[22:23]
	v_fma_f64 v[237:238], v[132:133], s[56:57], v[70:71]
	v_mul_f64 v[229:230], v[176:177], s[6:7]
	v_mul_f64 v[176:177], v[176:177], s[26:27]
	;; [unrolled: 1-line block ×3, first 2 shown]
	v_add_f64 v[2:3], v[239:240], v[2:3]
	v_fma_f64 v[70:71], v[132:133], s[24:25], v[70:71]
	v_add_f64 v[62:63], v[62:63], v[66:67]
	v_fma_f64 v[239:240], v[140:141], s[58:59], v[164:165]
	v_add_f64 v[237:238], v[6:7], v[237:238]
	v_add_f64 v[60:61], v[60:61], v[64:65]
	v_fma_f64 v[209:210], v[162:163], s[22:23], v[219:220]
	v_mul_f64 v[231:232], v[156:157], s[4:5]
	v_mul_f64 v[156:157], v[188:189], s[22:23]
	v_fma_f64 v[219:220], v[162:163], s[22:23], -v[219:220]
	v_add_f64 v[217:218], v[235:236], v[217:218]
	v_mul_f64 v[132:133], v[188:189], s[38:39]
	v_fma_f64 v[188:189], v[152:153], s[54:55], v[176:177]
	v_add_f64 v[237:238], v[239:240], v[237:238]
	v_mul_f64 v[144:145], v[144:145], s[34:35]
	v_fma_f64 v[140:141], v[140:141], s[34:35], v[164:165]
	v_add_f64 v[70:71], v[6:7], v[70:71]
	v_fma_f64 v[164:165], v[108:109], s[8:9], v[134:135]
	v_add_f64 v[22:23], v[22:23], v[62:63]
	v_add_f64 v[20:21], v[20:21], v[60:61]
	v_mul_f64 v[64:65], v[186:187], s[20:21]
	v_add_f64 v[217:218], v[219:220], v[217:218]
	v_fma_f64 v[219:220], v[158:159], s[52:53], v[132:133]
	v_add_f64 v[188:189], v[188:189], v[237:238]
	v_fma_f64 v[152:153], v[152:153], s[36:37], v[176:177]
	;; [unrolled: 2-line block ×3, first 2 shown]
	v_add_f64 v[164:165], v[4:5], v[164:165]
	v_mul_f64 v[146:147], v[146:147], s[36:37]
	v_mul_f64 v[186:187], v[186:187], s[30:31]
	v_add_f64 v[18:19], v[18:19], v[22:23]
	v_add_f64 v[16:17], v[16:17], v[20:21]
	v_mul_f64 v[235:236], v[194:195], s[26:27]
	v_add_f64 v[188:189], v[219:220], v[188:189]
	v_mul_f64 v[194:195], v[194:195], s[20:21]
	;; [unrolled: 2-line block ×3, first 2 shown]
	v_fma_f64 v[132:133], v[158:159], s[42:43], v[132:133]
	v_fma_f64 v[158:159], v[120:121], s[26:27], v[146:147]
	v_add_f64 v[70:71], v[152:153], v[70:71]
	v_fma_f64 v[152:153], v[168:169], s[40:41], v[186:187]
	v_add_f64 v[10:11], v[10:11], v[18:19]
	v_add_f64 v[8:9], v[8:9], v[16:17]
	v_mul_f64 v[223:224], v[199:200], s[40:41]
	v_mul_f64 v[237:238], v[201:202], s[30:31]
	;; [unrolled: 1-line block ×3, first 2 shown]
	v_fma_f64 v[62:63], v[180:181], s[28:29], v[194:195]
	v_add_f64 v[140:141], v[158:159], v[140:141]
	v_fma_f64 v[158:159], v[126:127], s[38:39], v[160:161]
	v_add_f64 v[152:153], v[152:153], v[188:189]
	;; [unrolled: 2-line block ×3, first 2 shown]
	v_add_f64 v[10:11], v[26:27], v[10:11]
	v_add_f64 v[8:9], v[24:25], v[8:9]
	;; [unrolled: 1-line block ×3, first 2 shown]
	v_fma_f64 v[227:228], v[172:173], s[30:31], v[223:224]
	v_mul_f64 v[215:216], v[108:109], s[4:5]
	v_fma_f64 v[60:61], v[190:191], s[14:15], v[201:202]
	v_add_f64 v[132:133], v[158:159], v[140:141]
	v_add_f64 v[62:63], v[62:63], v[152:153]
	v_fma_f64 v[140:141], v[180:181], s[44:45], v[194:195]
	v_add_f64 v[70:71], v[168:169], v[70:71]
	v_add_f64 v[10:11], v[30:31], v[10:11]
	v_add_f64 v[8:9], v[28:29], v[8:9]
	v_add_f64 v[209:210], v[227:228], v[209:210]
	v_mul_f64 v[227:228], v[114:115], s[8:9]
	v_add_f64 v[112:113], v[112:113], v[231:232]
	v_add_f64 v[28:29], v[215:216], -v[110:111]
	v_add_f64 v[60:61], v[60:61], v[62:63]
	v_fma_f64 v[62:63], v[190:191], s[50:51], v[201:202]
	v_add_f64 v[70:71], v[140:141], v[70:71]
	v_fma_f64 v[30:31], v[108:109], s[8:9], -v[134:135]
	v_add_f64 v[10:11], v[14:15], v[10:11]
	v_add_f64 v[8:9], v[12:13], v[8:9]
	v_mul_f64 v[213:214], v[120:121], s[6:7]
	v_add_f64 v[108:109], v[118:119], v[233:234]
	v_add_f64 v[6:7], v[6:7], v[112:113]
	v_add_f64 v[110:111], v[227:228], -v[116:117]
	v_add_f64 v[12:13], v[4:5], v[28:29]
	v_add_f64 v[62:63], v[62:63], v[70:71]
	v_fma_f64 v[70:71], v[114:115], s[22:23], -v[144:145]
	v_add_f64 v[4:5], v[4:5], v[30:31]
	v_add_f64 v[10:11], v[34:35], v[10:11]
	;; [unrolled: 1-line block ×3, first 2 shown]
	v_mul_f64 v[68:69], v[126:127], s[22:23]
	v_add_f64 v[28:29], v[124:125], v[229:230]
	v_add_f64 v[6:7], v[108:109], v[6:7]
	v_add_f64 v[30:31], v[213:214], -v[122:123]
	v_add_f64 v[12:13], v[110:111], v[12:13]
	v_fma_f64 v[14:15], v[120:121], s[26:27], -v[146:147]
	v_add_f64 v[4:5], v[70:71], v[4:5]
	v_add_f64 v[10:11], v[38:39], v[10:11]
	;; [unrolled: 1-line block ×3, first 2 shown]
	v_mul_f64 v[225:226], v[136:137], s[20:21]
	v_add_f64 v[34:35], v[130:131], v[156:157]
	v_add_f64 v[6:7], v[28:29], v[6:7]
	v_add_f64 v[28:29], v[68:69], -v[128:129]
	v_add_f64 v[12:13], v[30:31], v[12:13]
	v_mul_f64 v[174:175], v[174:175], s[46:47]
	v_fma_f64 v[32:33], v[126:127], s[38:39], -v[160:161]
	v_add_f64 v[4:5], v[14:15], v[4:5]
	v_add_f64 v[10:11], v[42:43], v[10:11]
	;; [unrolled: 1-line block ×3, first 2 shown]
	v_mul_f64 v[66:67], v[148:149], s[26:27]
	v_add_f64 v[30:31], v[142:143], v[64:65]
	v_add_f64 v[6:7], v[34:35], v[6:7]
	v_add_f64 v[34:35], v[225:226], -v[138:139]
	v_add_f64 v[12:13], v[28:29], v[12:13]
	v_mul_f64 v[20:21], v[184:185], s[44:45]
	v_fma_f64 v[14:15], v[136:137], s[30:31], -v[174:175]
	v_add_f64 v[4:5], v[32:33], v[4:5]
	v_fma_f64 v[22:23], v[136:137], s[30:31], v[174:175]
	v_add_f64 v[10:11], v[46:47], v[10:11]
	v_add_f64 v[8:9], v[44:45], v[8:9]
	v_mul_f64 v[239:240], v[162:163], s[30:31]
	v_mul_f64 v[16:17], v[192:193], s[50:51]
	v_add_f64 v[28:29], v[154:155], v[235:236]
	v_add_f64 v[6:7], v[30:31], v[6:7]
	v_add_f64 v[30:31], v[66:67], -v[150:151]
	v_add_f64 v[12:13], v[34:35], v[12:13]
	v_fma_f64 v[18:19], v[148:149], s[20:21], v[20:21]
	v_fma_f64 v[20:21], v[148:149], s[20:21], -v[20:21]
	v_add_f64 v[4:5], v[14:15], v[4:5]
	v_add_f64 v[22:23], v[22:23], v[132:133]
	;; [unrolled: 1-line block ×4, first 2 shown]
	v_mul_f64 v[176:177], v[203:204], s[4:5]
	v_mul_f64 v[219:220], v[172:173], s[38:39]
	;; [unrolled: 1-line block ×3, first 2 shown]
	v_fma_f64 v[26:27], v[162:163], s[6:7], v[16:17]
	v_fma_f64 v[14:15], v[162:163], s[6:7], -v[16:17]
	v_add_f64 v[16:17], v[170:171], v[237:238]
	v_add_f64 v[6:7], v[28:29], v[6:7]
	v_add_f64 v[0:1], v[239:240], -v[0:1]
	v_add_f64 v[12:13], v[30:31], v[12:13]
	v_mul_f64 v[24:25], v[199:200], s[48:49]
	v_add_f64 v[4:5], v[20:21], v[4:5]
	v_fma_f64 v[221:222], v[197:198], s[40:41], v[221:222]
	v_add_f64 v[18:19], v[18:19], v[22:23]
	v_add_f64 v[32:33], v[50:51], v[10:11]
	;; [unrolled: 1-line block ×5, first 2 shown]
	v_add_f64 v[30:31], v[219:220], -v[178:179]
	v_add_f64 v[0:1], v[0:1], v[12:13]
	v_fma_f64 v[22:23], v[197:198], s[48:49], v[176:177]
	v_fma_f64 v[20:21], v[172:173], s[4:5], -v[24:25]
	v_add_f64 v[4:5], v[14:15], v[4:5]
	v_add_f64 v[2:3], v[221:222], v[2:3]
	v_fma_f64 v[221:222], v[172:173], s[30:31], -v[223:224]
	v_fma_f64 v[164:165], v[197:198], s[10:11], v[176:177]
	v_fma_f64 v[24:25], v[172:173], s[4:5], v[24:25]
	v_add_f64 v[26:27], v[26:27], v[18:19]
	v_add_f64 v[14:15], v[58:59], v[32:33]
	;; [unrolled: 1-line block ×8, first 2 shown]
	v_mul_lo_u16_e32 v20, 17, v255
	v_add_lshl_u32 v20, v167, v20, 4
	v_add_f64 v[18:19], v[164:165], v[60:61]
	v_add_f64 v[16:17], v[24:25], v[26:27]
	ds_write_b128 v20, v[12:15]
	ds_write_b128 v20, v[8:11] offset:16
	ds_write_b128 v20, v[4:7] offset:32
	ds_write_b128 v20, v[0:3] offset:48
	ds_write_b128 v20, v[205:208] offset:64
	ds_write_b128 v20, v[100:103] offset:80
	ds_write_b128 v20, v[92:95] offset:96
	ds_write_b128 v20, v[84:87] offset:112
	ds_write_b128 v20, v[80:83] offset:128
	ds_write_b128 v20, v[72:75] offset:144
	ds_write_b128 v20, v[76:79] offset:160
	ds_write_b128 v20, v[88:91] offset:176
	ds_write_b128 v20, v[96:99] offset:192
	ds_write_b128 v20, v[104:107] offset:208
	ds_write_b128 v20, v[209:212] offset:224
	ds_write_b128 v20, v[16:19] offset:240
	ds_write_b128 v20, v[246:249] offset:256
.LBB0_7:
	s_or_b64 exec, exec, s[12:13]
	s_load_dwordx4 s[4:7], s[0:1], 0x0
	s_movk_i32 s0, 0xee
	v_add_co_u32_e64 v2, s[0:1], s0, v255
	s_movk_i32 s0, 0xffef
	v_add_co_u32_e64 v0, s[0:1], s0, v255
	v_addc_co_u32_e64 v1, s[0:1], 0, -1, s[0:1]
	v_cmp_gt_u16_e64 s[0:1], 17, v255
	v_cndmask_b32_e64 v97, v1, 0, s[0:1]
	v_cndmask_b32_e64 v96, v0, v255, s[0:1]
	v_lshlrev_b64 v[0:1], 4, v[96:97]
	v_mov_b32_e32 v3, s3
	v_add_co_u32_e64 v0, s[0:1], s2, v0
	v_addc_co_u32_e64 v1, s[0:1], v3, v1, s[0:1]
	v_add_u16_e32 v3, 34, v255
	s_movk_i32 s0, 0xf1
	v_mul_lo_u16_sdwa v4, v3, s0 dst_sel:DWORD dst_unused:UNUSED_PAD src0_sel:BYTE_0 src1_sel:DWORD
	v_lshrrev_b16_e32 v4, 12, v4
	v_mul_lo_u16_e32 v5, 17, v4
	v_sub_u16_e32 v5, v3, v5
	v_mov_b32_e32 v3, 4
	s_waitcnt lgkmcnt(0)
	s_barrier
	v_lshlrev_b32_sdwa v6, v3, v5 dst_sel:DWORD dst_unused:UNUSED_PAD src0_sel:DWORD src1_sel:BYTE_0
	global_load_dwordx4 v[24:27], v[0:1], off
	global_load_dwordx4 v[20:23], v6, s[2:3]
	v_add_u16_e32 v0, 0x44, v255
	v_mul_lo_u16_sdwa v1, v0, s0 dst_sel:DWORD dst_unused:UNUSED_PAD src0_sel:BYTE_0 src1_sel:DWORD
	v_lshrrev_b16_e32 v6, 12, v1
	v_mul_lo_u16_e32 v1, 17, v6
	v_sub_u16_e32 v7, v0, v1
	v_add_u16_e32 v1, 0x66, v255
	v_mul_lo_u16_sdwa v8, v1, s0 dst_sel:DWORD dst_unused:UNUSED_PAD src0_sel:BYTE_0 src1_sel:DWORD
	v_lshrrev_b16_e32 v8, 12, v8
	v_mul_lo_u16_e32 v9, 17, v8
	v_lshlrev_b32_sdwa v0, v3, v7 dst_sel:DWORD dst_unused:UNUSED_PAD src0_sel:DWORD src1_sel:BYTE_0
	v_sub_u16_e32 v9, v1, v9
	v_lshlrev_b32_sdwa v1, v3, v9 dst_sel:DWORD dst_unused:UNUSED_PAD src0_sel:DWORD src1_sel:BYTE_0
	global_load_dwordx4 v[32:35], v0, s[2:3]
	global_load_dwordx4 v[28:31], v1, s[2:3]
	v_add_u16_e32 v0, 0x88, v255
	v_mul_lo_u16_sdwa v1, v0, s0 dst_sel:DWORD dst_unused:UNUSED_PAD src0_sel:BYTE_0 src1_sel:DWORD
	v_lshrrev_b16_e32 v10, 12, v1
	v_mul_lo_u16_e32 v1, 17, v10
	v_sub_u16_e32 v11, v0, v1
	v_add_u16_e32 v1, 0xaa, v255
	v_mul_lo_u16_sdwa v12, v1, s0 dst_sel:DWORD dst_unused:UNUSED_PAD src0_sel:BYTE_0 src1_sel:DWORD
	v_lshrrev_b16_e32 v12, 12, v12
	v_mul_lo_u16_e32 v13, 17, v12
	v_lshlrev_b32_sdwa v0, v3, v11 dst_sel:DWORD dst_unused:UNUSED_PAD src0_sel:DWORD src1_sel:BYTE_0
	v_sub_u16_e32 v13, v1, v13
	v_lshlrev_b32_sdwa v1, v3, v13 dst_sel:DWORD dst_unused:UNUSED_PAD src0_sel:DWORD src1_sel:BYTE_0
	global_load_dwordx4 v[185:188], v0, s[2:3]
	global_load_dwordx4 v[179:182], v1, s[2:3]
	v_add_u16_e32 v0, 0xcc, v255
	v_mul_lo_u16_sdwa v1, v0, s0 dst_sel:DWORD dst_unused:UNUSED_PAD src0_sel:BYTE_0 src1_sel:DWORD
	v_lshrrev_b16_e32 v14, 12, v1
	v_mul_lo_u16_e32 v1, 17, v14
	s_mov_b32 s0, 0xf0f1
	v_sub_u16_e32 v15, v0, v1
	v_mul_u32_u24_sdwa v1, v2, s0 dst_sel:DWORD dst_unused:UNUSED_PAD src0_sel:WORD_0 src1_sel:DWORD
	v_lshrrev_b32_e32 v16, 20, v1
	v_lshlrev_b32_sdwa v0, v3, v15 dst_sel:DWORD dst_unused:UNUSED_PAD src0_sel:DWORD src1_sel:BYTE_0
	v_mul_lo_u16_e32 v1, 17, v16
	v_sub_u16_e32 v17, v2, v1
	global_load_dwordx4 v[189:192], v0, s[2:3]
	v_lshlrev_b32_e32 v0, 4, v17
	global_load_dwordx4 v[197:200], v0, s[2:3]
	v_add_lshl_u32 v162, v167, v255, 4
	ds_read_b128 v[0:3], v162
	ds_read_b128 v[36:39], v162 offset:544
	ds_read_b128 v[40:43], v162 offset:4352
	;; [unrolled: 1-line block ×15, first 2 shown]
	v_cmp_lt_u16_e64 s[0:1], 16, v255
	v_cndmask_b32_e64 v18, 0, 34, s[0:1]
	v_add_u32_e32 v18, v96, v18
	v_add_lshl_u32 v183, v167, v18, 4
	s_waitcnt vmcnt(0) lgkmcnt(0)
	s_barrier
	s_movk_i32 s0, 0xf0
	s_mov_b32 s8, 0xcf328d46
	s_mov_b32 s10, 0xa6aea964
	;; [unrolled: 1-line block ×8, first 2 shown]
	v_mul_f64 v[97:98], v[42:43], v[26:27]
	v_mul_f64 v[99:100], v[40:41], v[26:27]
	;; [unrolled: 1-line block ×4, first 2 shown]
	v_fma_f64 v[40:41], v[40:41], v[24:25], -v[97:98]
	v_fma_f64 v[42:43], v[42:43], v[24:25], v[99:100]
	v_fma_f64 v[44:45], v[44:45], v[20:21], -v[101:102]
	v_fma_f64 v[46:47], v[46:47], v[20:21], v[103:104]
	v_mul_f64 v[105:106], v[58:59], v[34:35]
	v_mul_f64 v[107:108], v[56:57], v[34:35]
	;; [unrolled: 1-line block ×4, first 2 shown]
	v_add_f64 v[40:41], v[0:1], -v[40:41]
	v_add_f64 v[42:43], v[2:3], -v[42:43]
	;; [unrolled: 1-line block ×4, first 2 shown]
	v_fma_f64 v[56:57], v[56:57], v[32:33], -v[105:106]
	v_fma_f64 v[58:59], v[58:59], v[32:33], v[107:108]
	v_fma_f64 v[60:61], v[60:61], v[28:29], -v[109:110]
	v_fma_f64 v[62:63], v[62:63], v[28:29], v[111:112]
	v_fma_f64 v[0:1], v[0:1], 2.0, -v[40:41]
	v_mul_f64 v[97:98], v[74:75], v[187:188]
	v_mul_f64 v[99:100], v[72:73], v[187:188]
	;; [unrolled: 1-line block ×4, first 2 shown]
	v_add_f64 v[56:57], v[48:49], -v[56:57]
	v_add_f64 v[58:59], v[50:51], -v[58:59]
	v_fma_f64 v[2:3], v[2:3], 2.0, -v[42:43]
	v_add_f64 v[60:61], v[52:53], -v[60:61]
	v_fma_f64 v[72:73], v[72:73], v[185:186], -v[97:98]
	v_fma_f64 v[74:75], v[74:75], v[185:186], v[99:100]
	v_fma_f64 v[76:77], v[76:77], v[179:180], -v[101:102]
	v_fma_f64 v[78:79], v[78:79], v[179:180], v[103:104]
	v_add_f64 v[62:63], v[54:55], -v[62:63]
	v_mul_f64 v[105:106], v[90:91], v[191:192]
	v_mul_f64 v[107:108], v[88:89], v[191:192]
	;; [unrolled: 1-line block ×4, first 2 shown]
	v_fma_f64 v[36:37], v[36:37], 2.0, -v[44:45]
	v_fma_f64 v[38:39], v[38:39], 2.0, -v[46:47]
	;; [unrolled: 1-line block ×4, first 2 shown]
	v_fma_f64 v[88:89], v[88:89], v[189:190], -v[105:106]
	v_fma_f64 v[90:91], v[90:91], v[189:190], v[107:108]
	v_fma_f64 v[92:93], v[92:93], v[197:198], -v[109:110]
	v_fma_f64 v[94:95], v[94:95], v[197:198], v[111:112]
	v_add_f64 v[72:73], v[64:65], -v[72:73]
	v_add_f64 v[74:75], v[66:67], -v[74:75]
	v_add_f64 v[76:77], v[68:69], -v[76:77]
	v_add_f64 v[78:79], v[70:71], -v[78:79]
	ds_write_b128 v183, v[0:3]
	ds_write_b128 v183, v[40:43] offset:272
	v_mad_legacy_u16 v0, v4, 34, v5
	v_fma_f64 v[52:53], v[52:53], 2.0, -v[60:61]
	v_fma_f64 v[54:55], v[54:55], 2.0, -v[62:63]
	v_add_f64 v[88:89], v[80:81], -v[88:89]
	v_add_f64 v[90:91], v[82:83], -v[90:91]
	v_and_b32_e32 v0, 0xff, v0
	v_add_lshl_u32 v0, v167, v0, 4
	v_add_f64 v[92:93], v[84:85], -v[92:93]
	v_add_f64 v[94:95], v[86:87], -v[94:95]
	ds_write_b128 v0, v[36:39]
	buffer_store_dword v0, off, s[60:63], 0 offset:12 ; 4-byte Folded Spill
	ds_write_b128 v0, v[44:47] offset:272
	v_mul_u32_u24_e32 v0, 34, v6
	v_add_u32_sdwa v0, v0, v7 dst_sel:DWORD dst_unused:UNUSED_PAD src0_sel:DWORD src1_sel:BYTE_0
	v_add_lshl_u32 v0, v167, v0, 4
	v_fma_f64 v[64:65], v[64:65], 2.0, -v[72:73]
	v_fma_f64 v[66:67], v[66:67], 2.0, -v[74:75]
	;; [unrolled: 1-line block ×4, first 2 shown]
	ds_write_b128 v0, v[48:51]
	buffer_store_dword v0, off, s[60:63], 0 ; 4-byte Folded Spill
	ds_write_b128 v0, v[56:59] offset:272
	v_mul_u32_u24_e32 v0, 34, v8
	v_add_u32_sdwa v0, v0, v9 dst_sel:DWORD dst_unused:UNUSED_PAD src0_sel:DWORD src1_sel:BYTE_0
	v_add_lshl_u32 v0, v167, v0, 4
	v_fma_f64 v[80:81], v[80:81], 2.0, -v[88:89]
	v_fma_f64 v[82:83], v[82:83], 2.0, -v[90:91]
	ds_write_b128 v0, v[52:55]
	buffer_store_dword v0, off, s[60:63], 0 offset:4 ; 4-byte Folded Spill
	ds_write_b128 v0, v[60:63] offset:272
	v_mul_u32_u24_e32 v0, 34, v10
	v_add_u32_sdwa v0, v0, v11 dst_sel:DWORD dst_unused:UNUSED_PAD src0_sel:DWORD src1_sel:BYTE_0
	v_fma_f64 v[84:85], v[84:85], 2.0, -v[92:93]
	v_fma_f64 v[86:87], v[86:87], 2.0, -v[94:95]
	v_add_lshl_u32 v184, v167, v0, 4
	v_mul_u32_u24_e32 v0, 34, v12
	v_add_u32_sdwa v0, v0, v13 dst_sel:DWORD dst_unused:UNUSED_PAD src0_sel:DWORD src1_sel:BYTE_0
	v_add_lshl_u32 v0, v167, v0, 4
	ds_write_b128 v184, v[64:67]
	ds_write_b128 v184, v[72:75] offset:272
	ds_write_b128 v0, v[68:71]
	buffer_store_dword v0, off, s[60:63], 0 offset:8 ; 4-byte Folded Spill
	ds_write_b128 v0, v[76:79] offset:272
	v_mul_u32_u24_e32 v0, 34, v14
	v_add_u32_sdwa v0, v0, v15 dst_sel:DWORD dst_unused:UNUSED_PAD src0_sel:DWORD src1_sel:BYTE_0
	v_add_lshl_u32 v0, v167, v0, 4
	ds_write_b128 v0, v[80:83]
	buffer_store_dword v0, off, s[60:63], 0 offset:16 ; 4-byte Folded Spill
	ds_write_b128 v0, v[88:91] offset:272
	v_mad_legacy_u16 v0, v16, 34, v17
	v_add_lshl_u32 v0, v167, v0, 4
	ds_write_b128 v0, v[84:87]
	buffer_store_dword v0, off, s[60:63], 0 offset:20 ; 4-byte Folded Spill
	ds_write_b128 v0, v[92:95] offset:272
	v_mov_b32_e32 v0, s2
	v_mov_b32_e32 v1, s3
	v_mad_u64_u32 v[0:1], s[0:1], v255, s0, v[0:1]
	s_waitcnt vmcnt(0) lgkmcnt(0)
	s_barrier
	global_load_dwordx4 v[44:47], v[0:1], off offset:272
	global_load_dwordx4 v[36:39], v[0:1], off offset:288
	;; [unrolled: 1-line block ×15, first 2 shown]
	ds_read_b128 v[0:3], v162
	ds_read_b128 v[96:99], v162 offset:544
	ds_read_b128 v[100:103], v162 offset:1088
	;; [unrolled: 1-line block ×15, first 2 shown]
	s_mov_b32 s0, 0x667f3bcd
	s_mov_b32 s1, 0xbfe6a09e
	;; [unrolled: 1-line block ×4, first 2 shown]
	s_waitcnt vmcnt(14) lgkmcnt(14)
	v_mul_f64 v[156:157], v[98:99], v[46:47]
	v_mul_f64 v[158:159], v[96:97], v[46:47]
	s_waitcnt vmcnt(12) lgkmcnt(12)
	v_mul_f64 v[165:166], v[106:107], v[207:208]
	v_mul_f64 v[167:168], v[104:105], v[207:208]
	;; [unrolled: 1-line block ×4, first 2 shown]
	s_waitcnt vmcnt(8) lgkmcnt(8)
	v_mul_f64 v[169:170], v[122:123], v[58:59]
	v_mul_f64 v[171:172], v[120:121], v[58:59]
	v_fma_f64 v[96:97], v[96:97], v[44:45], -v[156:157]
	v_fma_f64 v[98:99], v[98:99], v[44:45], v[158:159]
	v_fma_f64 v[104:105], v[104:105], v[205:206], -v[165:166]
	v_fma_f64 v[106:107], v[106:107], v[205:206], v[167:168]
	v_mul_f64 v[156:157], v[110:111], v[203:204]
	v_mul_f64 v[158:159], v[108:109], v[203:204]
	;; [unrolled: 1-line block ×4, first 2 shown]
	v_fma_f64 v[100:101], v[100:101], v[36:37], -v[160:161]
	v_fma_f64 v[102:103], v[102:103], v[36:37], v[163:164]
	v_mul_f64 v[160:161], v[114:115], v[66:67]
	v_mul_f64 v[163:164], v[112:113], v[66:67]
	v_fma_f64 v[108:109], v[108:109], v[201:202], -v[156:157]
	v_fma_f64 v[110:111], v[110:111], v[201:202], v[158:159]
	v_fma_f64 v[116:117], v[116:117], v[60:61], -v[165:166]
	v_fma_f64 v[118:119], v[118:119], v[60:61], v[167:168]
	s_waitcnt vmcnt(7) lgkmcnt(7)
	v_mul_f64 v[156:157], v[126:127], v[54:55]
	v_mul_f64 v[158:159], v[124:125], v[54:55]
	s_waitcnt vmcnt(5) lgkmcnt(5)
	v_mul_f64 v[165:166], v[134:135], v[78:79]
	v_mul_f64 v[167:168], v[132:133], v[78:79]
	v_fma_f64 v[112:113], v[112:113], v[64:65], -v[160:161]
	v_fma_f64 v[114:115], v[114:115], v[64:65], v[163:164]
	v_fma_f64 v[120:121], v[120:121], v[56:57], -v[169:170]
	v_fma_f64 v[122:123], v[122:123], v[56:57], v[171:172]
	;; [unrolled: 2-line block ×4, first 2 shown]
	s_waitcnt vmcnt(3) lgkmcnt(3)
	v_mul_f64 v[156:157], v[142:143], v[70:71]
	v_mul_f64 v[158:159], v[140:141], v[70:71]
	s_waitcnt vmcnt(1) lgkmcnt(1)
	v_mul_f64 v[165:166], v[150:151], v[90:91]
	v_mul_f64 v[167:168], v[148:149], v[90:91]
	;; [unrolled: 1-line block ×6, first 2 shown]
	v_fma_f64 v[140:141], v[140:141], v[68:69], -v[156:157]
	v_fma_f64 v[142:143], v[142:143], v[68:69], v[158:159]
	v_fma_f64 v[148:149], v[148:149], v[88:89], -v[165:166]
	v_fma_f64 v[150:151], v[150:151], v[88:89], v[167:168]
	;; [unrolled: 2-line block ×4, first 2 shown]
	v_mul_f64 v[160:161], v[146:147], v[94:95]
	v_mul_f64 v[163:164], v[144:145], v[94:95]
	s_waitcnt vmcnt(0) lgkmcnt(0)
	v_mul_f64 v[169:170], v[154:155], v[86:87]
	v_mul_f64 v[171:172], v[152:153], v[86:87]
	v_add_f64 v[124:125], v[0:1], -v[124:125]
	v_add_f64 v[140:141], v[108:109], -v[140:141]
	;; [unrolled: 1-line block ×6, first 2 shown]
	v_fma_f64 v[144:145], v[144:145], v[92:93], -v[160:161]
	v_fma_f64 v[146:147], v[146:147], v[92:93], v[163:164]
	v_fma_f64 v[152:153], v[152:153], v[84:85], -v[169:170]
	v_fma_f64 v[154:155], v[154:155], v[84:85], v[171:172]
	v_add_f64 v[126:127], v[2:3], -v[126:127]
	v_add_f64 v[134:135], v[102:103], -v[134:135]
	v_fma_f64 v[0:1], v[0:1], 2.0, -v[124:125]
	v_fma_f64 v[108:109], v[108:109], 2.0, -v[140:141]
	;; [unrolled: 1-line block ×6, first 2 shown]
	v_add_f64 v[142:143], v[124:125], -v[142:143]
	v_add_f64 v[150:151], v[132:133], -v[150:151]
	v_fma_f64 v[2:3], v[2:3], 2.0, -v[126:127]
	v_fma_f64 v[102:103], v[102:103], 2.0, -v[134:135]
	v_add_f64 v[128:129], v[96:97], -v[128:129]
	v_add_f64 v[144:145], v[112:113], -v[144:145]
	;; [unrolled: 1-line block ×7, first 2 shown]
	v_add_f64 v[140:141], v[126:127], v[140:141]
	v_add_f64 v[116:117], v[100:101], -v[116:117]
	v_add_f64 v[148:149], v[134:135], v[148:149]
	v_fma_f64 v[124:125], v[124:125], 2.0, -v[142:143]
	v_fma_f64 v[132:133], v[132:133], 2.0, -v[150:151]
	v_add_f64 v[130:131], v[98:99], -v[130:131]
	v_add_f64 v[138:139], v[106:107], -v[138:139]
	v_fma_f64 v[96:97], v[96:97], 2.0, -v[128:129]
	v_fma_f64 v[112:113], v[112:113], 2.0, -v[144:145]
	;; [unrolled: 1-line block ×6, first 2 shown]
	v_add_f64 v[110:111], v[2:3], -v[110:111]
	v_add_f64 v[118:119], v[102:103], -v[118:119]
	v_fma_f64 v[0:1], v[0:1], 2.0, -v[108:109]
	v_fma_f64 v[126:127], v[126:127], 2.0, -v[140:141]
	;; [unrolled: 1-line block ×4, first 2 shown]
	v_add_f64 v[146:147], v[128:129], -v[146:147]
	v_add_f64 v[154:155], v[136:137], -v[154:155]
	v_fma_f64 v[156:157], v[132:133], s[0:1], v[124:125]
	v_fma_f64 v[98:99], v[98:99], 2.0, -v[130:131]
	v_fma_f64 v[106:107], v[106:107], 2.0, -v[138:139]
	v_fma_f64 v[2:3], v[2:3], 2.0, -v[110:111]
	v_fma_f64 v[102:103], v[102:103], 2.0, -v[118:119]
	v_add_f64 v[112:113], v[96:97], -v[112:113]
	v_add_f64 v[144:145], v[130:131], v[144:145]
	v_add_f64 v[120:121], v[104:105], -v[120:121]
	v_add_f64 v[152:153], v[138:139], v[152:153]
	v_fma_f64 v[128:129], v[128:129], 2.0, -v[146:147]
	v_fma_f64 v[136:137], v[136:137], 2.0, -v[154:155]
	v_fma_f64 v[158:159], v[134:135], s[0:1], v[126:127]
	v_add_f64 v[160:161], v[0:1], -v[100:101]
	v_fma_f64 v[100:101], v[150:151], s[2:3], v[142:143]
	v_fma_f64 v[134:135], v[134:135], s[0:1], v[156:157]
	v_add_f64 v[114:115], v[98:99], -v[114:115]
	v_add_f64 v[122:123], v[106:107], -v[122:123]
	v_fma_f64 v[96:97], v[96:97], 2.0, -v[112:113]
	v_fma_f64 v[130:131], v[130:131], 2.0, -v[144:145]
	;; [unrolled: 1-line block ×4, first 2 shown]
	v_add_f64 v[163:164], v[2:3], -v[102:103]
	v_fma_f64 v[102:103], v[148:149], s[2:3], v[140:141]
	v_fma_f64 v[165:166], v[132:133], s[2:3], v[158:159]
	v_add_f64 v[169:170], v[110:111], v[116:117]
	v_fma_f64 v[171:172], v[148:149], s[0:1], v[100:101]
	v_fma_f64 v[116:117], v[124:125], 2.0, -v[134:135]
	v_fma_f64 v[100:101], v[136:137], s[0:1], v[128:129]
	v_fma_f64 v[124:125], v[154:155], s[2:3], v[146:147]
	v_fma_f64 v[98:99], v[98:99], 2.0, -v[114:115]
	v_fma_f64 v[106:107], v[106:107], 2.0, -v[122:123]
	v_add_f64 v[167:168], v[108:109], -v[118:119]
	v_fma_f64 v[173:174], v[150:151], s[2:3], v[102:103]
	v_fma_f64 v[118:119], v[126:127], 2.0, -v[165:166]
	v_fma_f64 v[102:103], v[138:139], s[0:1], v[130:131]
	v_fma_f64 v[132:133], v[142:143], 2.0, -v[171:172]
	v_fma_f64 v[126:127], v[152:153], s[2:3], v[144:145]
	v_add_f64 v[142:143], v[96:97], -v[104:105]
	v_fma_f64 v[138:139], v[138:139], s[0:1], v[100:101]
	v_fma_f64 v[175:176], v[152:153], s[0:1], v[124:125]
	v_fma_f64 v[0:1], v[0:1], 2.0, -v[160:161]
	v_add_f64 v[148:149], v[98:99], -v[106:107]
	v_fma_f64 v[136:137], v[136:137], s[2:3], v[102:103]
	v_add_f64 v[156:157], v[112:113], -v[122:123]
	v_add_f64 v[158:159], v[114:115], v[120:121]
	v_fma_f64 v[177:178], v[154:155], s[2:3], v[126:127]
	v_fma_f64 v[96:97], v[96:97], 2.0, -v[142:143]
	v_fma_f64 v[104:105], v[128:129], 2.0, -v[138:139]
	v_fma_f64 v[126:127], v[146:147], 2.0, -v[175:176]
	v_fma_f64 v[2:3], v[2:3], 2.0, -v[163:164]
	v_fma_f64 v[108:109], v[108:109], 2.0, -v[167:168]
	v_fma_f64 v[110:111], v[110:111], 2.0, -v[169:170]
	v_fma_f64 v[140:141], v[140:141], 2.0, -v[173:174]
	v_fma_f64 v[98:99], v[98:99], 2.0, -v[148:149]
	v_fma_f64 v[106:107], v[130:131], 2.0, -v[136:137]
	v_fma_f64 v[122:123], v[112:113], 2.0, -v[156:157]
	v_fma_f64 v[120:121], v[114:115], 2.0, -v[158:159]
	v_fma_f64 v[124:125], v[144:145], 2.0, -v[177:178]
	v_add_f64 v[100:101], v[0:1], -v[96:97]
	v_fma_f64 v[96:97], v[104:105], s[8:9], v[116:117]
	v_fma_f64 v[144:145], v[126:127], s[10:11], v[132:133]
	v_add_f64 v[102:103], v[2:3], -v[98:99]
	v_fma_f64 v[98:99], v[106:107], s[8:9], v[118:119]
	v_fma_f64 v[128:129], v[122:123], s[0:1], v[108:109]
	;; [unrolled: 1-line block ×3, first 2 shown]
	v_add_f64 v[142:143], v[163:164], v[142:143]
	v_fma_f64 v[112:113], v[106:107], s[10:11], v[96:97]
	v_fma_f64 v[96:97], v[124:125], s[10:11], v[140:141]
	;; [unrolled: 1-line block ×6, first 2 shown]
	v_fma_f64 v[98:99], v[2:3], 2.0, -v[102:103]
	v_fma_f64 v[2:3], v[136:137], s[12:13], v[165:166]
	v_fma_f64 v[104:105], v[116:117], 2.0, -v[112:113]
	v_fma_f64 v[126:127], v[126:127], s[14:15], v[96:97]
	v_fma_f64 v[96:97], v[0:1], 2.0, -v[100:101]
	v_fma_f64 v[116:117], v[132:133], 2.0, -v[124:125]
	v_fma_f64 v[0:1], v[138:139], s[12:13], v[134:135]
	v_fma_f64 v[128:129], v[156:157], s[2:3], v[167:168]
	;; [unrolled: 1-line block ×5, first 2 shown]
	v_fma_f64 v[106:107], v[118:119], 2.0, -v[114:115]
	v_fma_f64 v[118:119], v[140:141], 2.0, -v[126:127]
	v_add_f64 v[140:141], v[160:161], -v[148:149]
	v_fma_f64 v[148:149], v[136:137], s[8:9], v[0:1]
	v_fma_f64 v[150:151], v[138:139], s[14:15], v[2:3]
	;; [unrolled: 1-line block ×6, first 2 shown]
	v_fma_f64 v[108:109], v[108:109], 2.0, -v[120:121]
	v_fma_f64 v[110:111], v[110:111], 2.0, -v[122:123]
	;; [unrolled: 1-line block ×10, first 2 shown]
	v_lshl_add_u32 v163, v255, 4, v245
	v_lshl_add_u32 v167, v255, 4, v245
	ds_write_b128 v163, v[96:99]
	ds_write_b128 v167, v[104:107] offset:544
	ds_write_b128 v167, v[108:111] offset:1088
	;; [unrolled: 1-line block ×15, first 2 shown]
	s_waitcnt lgkmcnt(0)
	s_barrier
	s_and_saveexec_b64 s[0:1], vcc
	s_cbranch_execz .LBB0_9
; %bb.8:
	s_add_u32 s2, s16, 0x2200
	s_addc_u32 s3, s17, 0
	global_load_dwordx4 v[168:171], v196, s[2:3]
	ds_read_b128 v[0:3], v244
	v_or_b32_e32 v4, 0x1000, v196
	s_waitcnt vmcnt(0) lgkmcnt(0)
	v_mul_f64 v[160:161], v[2:3], v[170:171]
	v_fma_f64 v[172:173], v[0:1], v[168:169], -v[160:161]
	v_mul_f64 v[0:1], v[0:1], v[170:171]
	v_fma_f64 v[174:175], v[2:3], v[168:169], v[0:1]
	global_load_dwordx4 v[168:171], v196, s[2:3] offset:512
	ds_write_b128 v244, v[172:175]
	ds_read_b128 v[0:3], v167 offset:512
	s_waitcnt vmcnt(0) lgkmcnt(0)
	v_mul_f64 v[160:161], v[2:3], v[170:171]
	v_fma_f64 v[172:173], v[0:1], v[168:169], -v[160:161]
	v_mul_f64 v[0:1], v[0:1], v[170:171]
	v_fma_f64 v[174:175], v[2:3], v[168:169], v[0:1]
	global_load_dwordx4 v[168:171], v196, s[2:3] offset:1024
	ds_read_b128 v[0:3], v167 offset:1024
	ds_write_b128 v167, v[172:175] offset:512
	s_waitcnt vmcnt(0) lgkmcnt(1)
	v_mul_f64 v[160:161], v[2:3], v[170:171]
	v_fma_f64 v[172:173], v[0:1], v[168:169], -v[160:161]
	v_mul_f64 v[0:1], v[0:1], v[170:171]
	v_fma_f64 v[174:175], v[2:3], v[168:169], v[0:1]
	global_load_dwordx4 v[168:171], v196, s[2:3] offset:1536
	ds_read_b128 v[0:3], v167 offset:1536
	ds_write_b128 v167, v[172:175] offset:1024
	;; [unrolled: 8-line block ×6, first 2 shown]
	s_waitcnt vmcnt(0) lgkmcnt(1)
	v_mul_f64 v[160:161], v[2:3], v[170:171]
	v_fma_f64 v[172:173], v[0:1], v[168:169], -v[160:161]
	v_mul_f64 v[0:1], v[0:1], v[170:171]
	v_fma_f64 v[174:175], v[2:3], v[168:169], v[0:1]
	global_load_dwordx4 v[168:171], v4, s[2:3]
	ds_read_b128 v[0:3], v167 offset:4096
	v_or_b32_e32 v4, 0x1200, v196
	ds_write_b128 v167, v[172:175] offset:3584
	s_waitcnt vmcnt(0) lgkmcnt(1)
	v_mul_f64 v[160:161], v[2:3], v[170:171]
	v_fma_f64 v[172:173], v[0:1], v[168:169], -v[160:161]
	v_mul_f64 v[0:1], v[0:1], v[170:171]
	v_fma_f64 v[174:175], v[2:3], v[168:169], v[0:1]
	global_load_dwordx4 v[168:171], v4, s[2:3]
	ds_read_b128 v[0:3], v167 offset:4608
	v_or_b32_e32 v4, 0x1400, v196
	ds_write_b128 v167, v[172:175] offset:4096
	;; [unrolled: 9-line block ×8, first 2 shown]
	s_waitcnt vmcnt(0) lgkmcnt(1)
	v_mul_f64 v[160:161], v[2:3], v[170:171]
	v_fma_f64 v[172:173], v[0:1], v[168:169], -v[160:161]
	v_mul_f64 v[0:1], v[0:1], v[170:171]
	v_fma_f64 v[174:175], v[2:3], v[168:169], v[0:1]
	global_load_dwordx4 v[168:171], v4, s[2:3]
	ds_read_b128 v[0:3], v167 offset:8192
	ds_write_b128 v167, v[172:175] offset:7680
	s_waitcnt vmcnt(0) lgkmcnt(1)
	v_mul_f64 v[160:161], v[2:3], v[170:171]
	v_fma_f64 v[172:173], v[0:1], v[168:169], -v[160:161]
	v_mul_f64 v[0:1], v[0:1], v[170:171]
	v_fma_f64 v[174:175], v[2:3], v[168:169], v[0:1]
	ds_write_b128 v167, v[172:175] offset:8192
.LBB0_9:
	s_or_b64 exec, exec, s[0:1]
	s_waitcnt lgkmcnt(0)
	s_barrier
	s_and_saveexec_b64 s[0:1], vcc
	s_cbranch_execz .LBB0_11
; %bb.10:
	ds_read_b128 v[96:99], v244
	ds_read_b128 v[104:107], v163 offset:512
	ds_read_b128 v[108:111], v163 offset:1024
	;; [unrolled: 1-line block ×16, first 2 shown]
.LBB0_11:
	s_or_b64 exec, exec, s[0:1]
	s_waitcnt lgkmcnt(0)
	s_barrier
	s_and_saveexec_b64 s[0:1], vcc
	s_cbranch_execz .LBB0_13
; %bb.12:
	v_add_f64 v[223:224], v[104:105], -v[246:247]
	s_mov_b32 s12, 0xacd6c6b4
	s_mov_b32 s13, 0xbfc7851a
	v_add_f64 v[233:234], v[108:109], -v[156:157]
	v_add_f64 v[215:216], v[248:249], v[106:107]
	s_mov_b32 s38, 0x5d8e7cdc
	s_mov_b32 s2, 0x7faef3
	v_add_f64 v[0:1], v[100:101], -v[112:113]
	v_mul_f64 v[160:161], v[223:224], s[12:13]
	s_mov_b32 s39, 0x3fd71e95
	s_mov_b32 s3, 0xbfef7484
	v_add_f64 v[10:11], v[116:117], -v[152:153]
	v_mul_f64 v[165:166], v[233:234], s[38:39]
	v_add_f64 v[211:212], v[158:159], v[110:111]
	s_mov_b32 s50, 0xeb564b22
	s_mov_b32 s22, 0x4363dd80
	v_fma_f64 v[168:169], v[215:216], s[2:3], v[160:161]
	s_mov_b32 s14, 0x370991
	s_mov_b32 s51, 0x3fefdd0d
	v_mov_b32_e32 v9, v1
	s_mov_b32 s23, 0xbfe0d888
	s_mov_b32 s15, 0x3fedd6d0
	buffer_store_dword v197, off, s[60:63], 0 offset:84 ; 4-byte Folded Spill
	s_nop 0
	buffer_store_dword v198, off, s[60:63], 0 offset:88 ; 4-byte Folded Spill
	buffer_store_dword v199, off, s[60:63], 0 offset:92 ; 4-byte Folded Spill
	;; [unrolled: 1-line block ×4, first 2 shown]
	v_mul_f64 v[163:164], v[0:1], s[50:51]
	v_mov_b32_e32 v8, v0
	v_add_f64 v[0:1], v[128:129], -v[148:149]
	v_mul_f64 v[170:171], v[10:11], s[22:23]
	v_add_f64 v[213:214], v[154:155], v[118:119]
	v_fma_f64 v[172:173], v[211:212], s[14:15], v[165:166]
	v_add_f64 v[168:169], v[98:99], v[168:169]
	s_mov_b32 s46, 0x2a9d6da3
	s_mov_b32 s8, 0x910ea3b9
	;; [unrolled: 1-line block ×4, first 2 shown]
	v_add_f64 v[4:5], v[132:133], -v[140:141]
	v_mul_f64 v[174:175], v[0:1], s[46:47]
	v_add_f64 v[209:210], v[150:151], v[130:131]
	v_fma_f64 v[176:177], v[213:214], s[8:9], v[170:171]
	v_add_f64 v[168:169], v[172:173], v[168:169]
	s_mov_b32 s24, 0x6c9a05f6
	s_mov_b32 s20, 0x75d4884
	v_add_f64 v[2:3], v[136:137], -v[124:125]
	buffer_store_dword v44, off, s[60:63], 0 offset:320 ; 4-byte Folded Spill
	s_nop 0
	buffer_store_dword v45, off, s[60:63], 0 offset:324 ; 4-byte Folded Spill
	buffer_store_dword v46, off, s[60:63], 0 offset:328 ; 4-byte Folded Spill
	;; [unrolled: 1-line block ×3, first 2 shown]
	s_mov_b32 s25, 0xbfe9895b
	buffer_store_dword v205, off, s[60:63], 0 offset:120 ; 4-byte Folded Spill
	s_nop 0
	buffer_store_dword v206, off, s[60:63], 0 offset:124 ; 4-byte Folded Spill
	buffer_store_dword v207, off, s[60:63], 0 offset:128 ; 4-byte Folded Spill
	;; [unrolled: 1-line block ×3, first 2 shown]
	s_mov_b32 s21, 0x3fe7a5f6
	buffer_store_dword v179, off, s[60:63], 0 offset:36 ; 4-byte Folded Spill
	s_nop 0
	buffer_store_dword v180, off, s[60:63], 0 offset:40 ; 4-byte Folded Spill
	buffer_store_dword v181, off, s[60:63], 0 offset:44 ; 4-byte Folded Spill
	;; [unrolled: 1-line block ×3, first 2 shown]
	v_mul_f64 v[172:173], v[4:5], s[24:25]
	v_add_f64 v[207:208], v[142:143], v[134:135]
	v_fma_f64 v[178:179], v[209:210], s[20:21], v[174:175]
	v_add_f64 v[168:169], v[176:177], v[168:169]
	v_mov_b32_e32 v17, v11
	s_mov_b32 s42, 0x7c9e640b
	s_mov_b32 s10, 0x6ed5f1bb
	v_mov_b32_e32 v16, v10
	s_mov_b32 s43, 0x3feca52d
	v_mov_b32_e32 v11, v3
	s_mov_b32 s11, 0xbfe348c8
	v_mul_f64 v[176:177], v[2:3], s[42:43]
	v_mov_b32_e32 v10, v2
	v_add_f64 v[205:206], v[138:139], v[126:127]
	v_fma_f64 v[180:181], v[207:208], s[10:11], v[172:173]
	v_add_f64 v[168:169], v[178:179], v[168:169]
	v_add_f64 v[2:3], v[106:107], -v[248:249]
	s_mov_b32 s34, 0x2b2883cd
	s_mov_b32 s35, 0x3fdc86fa
	buffer_store_dword v201, off, s[60:63], 0 offset:104 ; 4-byte Folded Spill
	s_nop 0
	buffer_store_dword v202, off, s[60:63], 0 offset:108 ; 4-byte Folded Spill
	buffer_store_dword v203, off, s[60:63], 0 offset:112 ; 4-byte Folded Spill
	;; [unrolled: 1-line block ×4, first 2 shown]
	v_fma_f64 v[182:183], v[205:206], s[34:35], v[176:177]
	v_add_f64 v[40:41], v[110:111], -v[158:159]
	v_add_f64 v[168:169], v[180:181], v[168:169]
	v_add_f64 v[227:228], v[246:247], v[104:105]
	v_mul_f64 v[180:181], v[2:3], s[12:13]
	v_fma_f64 v[160:161], v[215:216], s[2:3], -v[160:161]
	buffer_store_dword v185, off, s[60:63], 0 offset:52 ; 4-byte Folded Spill
	s_nop 0
	buffer_store_dword v186, off, s[60:63], 0 offset:56 ; 4-byte Folded Spill
	buffer_store_dword v187, off, s[60:63], 0 offset:60 ; 4-byte Folded Spill
	;; [unrolled: 1-line block ×3, first 2 shown]
	v_add_f64 v[42:43], v[118:119], -v[154:155]
	v_add_f64 v[225:226], v[156:157], v[108:109]
	v_fma_f64 v[165:166], v[211:212], s[14:15], -v[165:166]
	v_add_f64 v[168:169], v[182:183], v[168:169]
	v_mul_f64 v[182:183], v[40:41], s[38:39]
	v_fma_f64 v[187:188], v[227:228], s[2:3], -v[180:181]
	v_add_f64 v[193:194], v[98:99], v[160:161]
	buffer_store_dword v36, off, s[60:63], 0 offset:176 ; 4-byte Folded Spill
	s_nop 0
	buffer_store_dword v37, off, s[60:63], 0 offset:180 ; 4-byte Folded Spill
	buffer_store_dword v38, off, s[60:63], 0 offset:184 ; 4-byte Folded Spill
	;; [unrolled: 1-line block ×4, first 2 shown]
	s_nop 0
	buffer_store_dword v190, off, s[60:63], 0 offset:72 ; 4-byte Folded Spill
	buffer_store_dword v191, off, s[60:63], 0 offset:76 ; 4-byte Folded Spill
	;; [unrolled: 1-line block ×3, first 2 shown]
	v_add_f64 v[199:200], v[130:131], -v[150:151]
	v_add_f64 v[235:236], v[152:153], v[116:117]
	v_mul_f64 v[189:190], v[42:43], s[22:23]
	v_fma_f64 v[191:192], v[225:226], s[14:15], -v[182:183]
	v_add_f64 v[187:188], v[96:97], v[187:188]
	v_fma_f64 v[180:181], v[227:228], s[2:3], v[180:181]
	v_fma_f64 v[170:171], v[213:214], s[8:9], -v[170:171]
	v_add_f64 v[165:166], v[165:166], v[193:194]
	v_mov_b32_e32 v19, v3
	buffer_store_dword v246, off, s[60:63], 0 offset:156 ; 4-byte Folded Spill
	s_nop 0
	buffer_store_dword v247, off, s[60:63], 0 offset:160 ; 4-byte Folded Spill
	buffer_store_dword v248, off, s[60:63], 0 offset:164 ; 4-byte Folded Spill
	;; [unrolled: 1-line block ×4, first 2 shown]
	s_nop 0
	buffer_store_dword v244, off, s[60:63], 0 offset:28 ; 4-byte Folded Spill
	buffer_store_dword v244, off, s[60:63], 0 offset:32 ; 4-byte Folded Spill
	v_mov_b32_e32 v18, v2
	v_add_f64 v[2:3], v[134:135], -v[142:143]
	v_add_f64 v[249:250], v[148:149], v[128:129]
	v_mul_f64 v[241:242], v[199:200], s[46:47]
	v_fma_f64 v[243:244], v[235:236], s[8:9], -v[189:190]
	v_add_f64 v[187:188], v[191:192], v[187:188]
	v_fma_f64 v[182:183], v[225:226], s[14:15], v[182:183]
	v_add_f64 v[180:181], v[96:97], v[180:181]
	v_fma_f64 v[174:175], v[209:210], s[20:21], -v[174:175]
	v_add_f64 v[165:166], v[170:171], v[165:166]
	v_add_f64 v[36:37], v[138:139], -v[126:127]
	v_add_f64 v[247:248], v[140:141], v[132:133]
	v_mul_f64 v[191:192], v[2:3], s[24:25]
	v_fma_f64 v[193:194], v[249:250], s[20:21], -v[241:242]
	v_add_f64 v[187:188], v[243:244], v[187:188]
	v_add_f64 v[6:7], v[144:145], -v[120:121]
	v_fma_f64 v[170:171], v[235:236], s[8:9], v[189:190]
	v_add_f64 v[180:181], v[182:183], v[180:181]
	v_fma_f64 v[172:173], v[207:208], s[10:11], -v[172:173]
	v_add_f64 v[165:166], v[174:175], v[165:166]
	v_mov_b32_e32 v15, v1
	s_mov_b32 s26, 0x923c349f
	v_mov_b32_e32 v14, v0
	s_mov_b32 s27, 0xbfeec746
	v_add_f64 v[0:1], v[146:147], -v[122:123]
	buffer_store_dword v245, off, s[60:63], 0 offset:172 ; 4-byte Folded Spill
	v_add_f64 v[245:246], v[136:137], v[124:125]
	v_mul_f64 v[182:183], v[36:37], s[42:43]
	v_fma_f64 v[189:190], v[247:248], s[10:11], -v[191:192]
	v_add_f64 v[187:188], v[193:194], v[187:188]
	v_mul_f64 v[178:179], v[6:7], s[26:27]
	v_add_f64 v[203:204], v[122:123], v[146:147]
	v_fma_f64 v[174:175], v[249:250], s[20:21], v[241:242]
	v_add_f64 v[170:171], v[170:171], v[180:181]
	v_fma_f64 v[176:177], v[205:206], s[34:35], -v[176:177]
	v_add_f64 v[165:166], v[172:173], v[165:166]
	v_mov_b32_e32 v13, v5
	s_mov_b32 s28, 0xc61f0d01
	v_mov_b32_e32 v12, v4
	s_mov_b32 s29, 0xbfd183b1
	v_add_f64 v[4:5], v[102:103], -v[114:115]
	v_add_f64 v[243:244], v[120:121], v[144:145]
	v_mul_f64 v[180:181], v[0:1], s[26:27]
	v_fma_f64 v[193:194], v[245:246], s[34:35], -v[182:183]
	v_add_f64 v[187:188], v[189:190], v[187:188]
	v_add_f64 v[197:198], v[114:115], v[102:103]
	v_fma_f64 v[185:186], v[203:204], s[28:29], v[178:179]
	v_fma_f64 v[172:173], v[247:248], s[10:11], v[191:192]
	v_add_f64 v[170:171], v[174:175], v[170:171]
	v_fma_f64 v[178:179], v[203:204], s[28:29], -v[178:179]
	v_add_f64 v[165:166], v[176:177], v[165:166]
	s_mov_b32 s30, 0x3259b75e
	s_mov_b32 s31, 0x3fb79ee6
	v_add_f64 v[241:242], v[112:113], v[100:101]
	v_mul_f64 v[174:175], v[4:5], s[50:51]
	v_fma_f64 v[189:190], v[243:244], s[28:29], -v[180:181]
	v_add_f64 v[187:188], v[193:194], v[187:188]
	v_add_f64 v[170:171], v[172:173], v[170:171]
	v_fma_f64 v[172:173], v[197:198], s[30:31], v[163:164]
	v_fma_f64 v[163:164], v[197:198], s[30:31], -v[163:164]
	v_add_f64 v[165:166], v[178:179], v[165:166]
	v_fma_f64 v[176:177], v[245:246], s[34:35], v[182:183]
	v_add_f64 v[168:169], v[185:186], v[168:169]
	v_fma_f64 v[182:183], v[241:242], s[30:31], -v[174:175]
	v_add_f64 v[185:186], v[189:190], v[187:188]
	v_mov_b32_e32 v240, v37
	v_mov_b32_e32 v254, v3
	;; [unrolled: 1-line block ×3, first 2 shown]
	v_add_f64 v[46:47], v[163:164], v[165:166]
	v_fma_f64 v[163:164], v[241:242], s[30:31], v[174:175]
	v_mul_f64 v[174:175], v[223:224], s[22:23]
	v_mov_b32_e32 v37, v1
	v_mov_b32_e32 v253, v2
	;; [unrolled: 1-line block ×3, first 2 shown]
	v_add_f64 v[2:3], v[172:173], v[168:169]
	v_add_f64 v[0:1], v[182:183], v[185:186]
	v_mul_f64 v[185:186], v[233:234], s[42:43]
	v_mul_f64 v[191:192], v[18:19], s[22:23]
	v_fma_f64 v[187:188], v[215:216], s[8:9], v[174:175]
	v_mov_b32_e32 v39, v5
	buffer_store_dword v0, off, s[60:63], 0 offset:140 ; 4-byte Folded Spill
	s_nop 0
	buffer_store_dword v1, off, s[60:63], 0 offset:144 ; 4-byte Folded Spill
	buffer_store_dword v2, off, s[60:63], 0 offset:148 ; 4-byte Folded Spill
	buffer_store_dword v3, off, s[60:63], 0 offset:152 ; 4-byte Folded Spill
	s_mov_b32 s41, 0xbfefdd0d
	s_mov_b32 s40, s50
	v_mov_b32_e32 v38, v4
	v_mul_f64 v[193:194], v[16:17], s[40:41]
	v_mov_b32_e32 v2, v196
	v_fma_f64 v[195:196], v[211:212], s[34:35], v[185:186]
	v_add_f64 v[187:188], v[98:99], v[187:188]
	v_mul_f64 v[4:5], v[40:41], s[42:43]
	v_fma_f64 v[217:218], v[227:228], s[8:9], -v[191:192]
	v_fma_f64 v[174:175], v[215:216], s[8:9], -v[174:175]
	v_fma_f64 v[191:192], v[227:228], s[8:9], v[191:192]
	s_mov_b32 s55, 0x3fe9895b
	s_mov_b32 s54, s24
	v_mul_f64 v[189:190], v[14:15], s[54:55]
	v_fma_f64 v[221:222], v[213:214], s[30:31], v[193:194]
	v_add_f64 v[187:188], v[195:196], v[187:188]
	v_mul_f64 v[195:196], v[42:43], s[40:41]
	v_fma_f64 v[229:230], v[225:226], s[34:35], -v[4:5]
	v_add_f64 v[217:218], v[96:97], v[217:218]
	v_fma_f64 v[185:186], v[211:212], s[34:35], -v[185:186]
	v_add_f64 v[174:175], v[98:99], v[174:175]
	v_fma_f64 v[4:5], v[225:226], s[34:35], v[4:5]
	v_add_f64 v[191:192], v[96:97], v[191:192]
	v_mov_b32_e32 v160, v199
	v_mov_b32_e32 v161, v200
	s_mov_b32 s37, 0xbfd71e95
	s_mov_b32 s36, s38
	v_mul_f64 v[182:183], v[12:13], s[36:37]
	v_fma_f64 v[219:220], v[209:210], s[10:11], v[189:190]
	v_add_f64 v[187:188], v[221:222], v[187:188]
	v_mul_f64 v[221:222], v[160:161], s[54:55]
	v_fma_f64 v[231:232], v[235:236], s[30:31], -v[195:196]
	v_add_f64 v[217:218], v[229:230], v[217:218]
	v_fma_f64 v[193:194], v[213:214], s[30:31], -v[193:194]
	v_add_f64 v[174:175], v[185:186], v[174:175]
	v_fma_f64 v[185:186], v[235:236], s[30:31], v[195:196]
	v_add_f64 v[4:5], v[4:5], v[191:192]
	v_mul_f64 v[172:173], v[10:11], s[12:13]
	v_fma_f64 v[0:1], v[207:208], s[14:15], v[182:183]
	v_add_f64 v[187:188], v[219:220], v[187:188]
	v_mul_f64 v[191:192], v[253:254], s[36:37]
	v_fma_f64 v[195:196], v[249:250], s[10:11], -v[221:222]
	v_add_f64 v[217:218], v[231:232], v[217:218]
	v_fma_f64 v[189:190], v[209:210], s[10:11], -v[189:190]
	v_add_f64 v[174:175], v[193:194], v[174:175]
	v_fma_f64 v[193:194], v[249:250], s[10:11], v[221:222]
	v_add_f64 v[4:5], v[185:186], v[4:5]
	v_fma_f64 v[178:179], v[243:244], s[28:29], v[180:181]
	;; [unrolled: 2-line block ×3, first 2 shown]
	v_add_f64 v[0:1], v[0:1], v[187:188]
	v_mul_f64 v[185:186], v[239:240], s[12:13]
	v_fma_f64 v[187:188], v[247:248], s[14:15], -v[191:192]
	v_add_f64 v[195:196], v[195:196], v[217:218]
	v_fma_f64 v[182:183], v[207:208], s[14:15], -v[182:183]
	v_add_f64 v[174:175], v[189:190], v[174:175]
	v_fma_f64 v[189:190], v[247:248], s[14:15], v[191:192]
	v_add_f64 v[4:5], v[193:194], v[4:5]
	v_mul_f64 v[176:177], v[8:9], s[26:27]
	v_add_f64 v[165:166], v[178:179], v[170:171]
	v_add_f64 v[0:1], v[180:181], v[0:1]
	v_mul_f64 v[180:181], v[36:37], s[46:47]
	v_fma_f64 v[191:192], v[245:246], s[2:3], -v[185:186]
	v_add_f64 v[187:188], v[187:188], v[195:196]
	v_add_f64 v[174:175], v[182:183], v[174:175]
	v_fma_f64 v[182:183], v[245:246], s[2:3], v[185:186]
	v_add_f64 v[4:5], v[189:190], v[4:5]
	v_fma_f64 v[170:171], v[197:198], s[28:29], v[176:177]
	v_add_f64 v[44:45], v[163:164], v[165:166]
	v_fma_f64 v[185:186], v[243:244], s[20:21], -v[180:181]
	v_fma_f64 v[165:166], v[197:198], s[28:29], -v[176:177]
	v_add_f64 v[187:188], v[191:192], v[187:188]
	v_mul_f64 v[176:177], v[223:224], s[24:25]
	s_mov_b32 s53, 0x3feec746
	v_add_f64 v[4:5], v[182:183], v[4:5]
	v_mul_f64 v[182:183], v[18:19], s[24:25]
	s_mov_b32 s52, s26
	v_mul_f64 v[217:218], v[40:41], s[52:53]
	v_mul_f64 v[168:169], v[6:7], s[46:47]
	v_add_f64 v[163:164], v[185:186], v[187:188]
	v_mul_f64 v[185:186], v[233:234], s[52:53]
	v_fma_f64 v[189:190], v[215:216], s[10:11], v[176:177]
	v_fma_f64 v[176:177], v[215:216], s[10:11], -v[176:177]
	v_fma_f64 v[219:220], v[227:228], s[10:11], -v[182:183]
	v_mul_f64 v[193:194], v[16:17], s[36:37]
	v_mul_f64 v[237:238], v[42:43], s[36:37]
	v_fma_f64 v[251:252], v[225:226], s[28:29], -v[217:218]
	v_fma_f64 v[178:179], v[203:204], s[20:21], v[168:169]
	v_fma_f64 v[221:222], v[211:212], s[28:29], v[185:186]
	v_add_f64 v[189:190], v[98:99], v[189:190]
	v_fma_f64 v[185:186], v[211:212], s[28:29], -v[185:186]
	v_add_f64 v[219:220], v[96:97], v[219:220]
	v_add_f64 v[176:177], v[98:99], v[176:177]
	v_fma_f64 v[172:173], v[205:206], s[2:3], -v[172:173]
	v_mul_f64 v[229:230], v[14:15], s[22:23]
	v_fma_f64 v[231:232], v[213:214], s[14:15], v[193:194]
	v_mul_f64 v[199:200], v[160:161], s[22:23]
	v_add_f64 v[189:190], v[221:222], v[189:190]
	v_fma_f64 v[182:183], v[227:228], s[10:11], v[182:183]
	v_fma_f64 v[201:202], v[235:236], s[14:15], -v[237:238]
	v_add_f64 v[219:220], v[251:252], v[219:220]
	v_fma_f64 v[193:194], v[213:214], s[14:15], -v[193:194]
	v_add_f64 v[176:177], v[185:186], v[176:177]
	v_add_f64 v[0:1], v[178:179], v[0:1]
	v_mul_f64 v[178:179], v[38:39], s[26:27]
	v_add_f64 v[172:173], v[172:173], v[174:175]
	v_fma_f64 v[174:175], v[243:244], s[20:21], v[180:181]
	v_mul_f64 v[180:181], v[12:13], s[50:51]
	v_fma_f64 v[221:222], v[209:210], s[8:9], v[229:230]
	v_add_f64 v[185:186], v[231:232], v[189:190]
	v_mul_f64 v[189:190], v[253:254], s[50:51]
	v_fma_f64 v[217:218], v[225:226], s[28:29], v[217:218]
	v_add_f64 v[182:183], v[96:97], v[182:183]
	v_fma_f64 v[231:232], v[249:250], s[8:9], -v[199:200]
	v_add_f64 v[201:202], v[201:202], v[219:220]
	v_fma_f64 v[219:220], v[209:210], s[8:9], -v[229:230]
	v_add_f64 v[176:177], v[193:194], v[176:177]
	buffer_store_dword v44, off, s[60:63], 0 offset:192 ; 4-byte Folded Spill
	s_nop 0
	buffer_store_dword v45, off, s[60:63], 0 offset:196 ; 4-byte Folded Spill
	buffer_store_dword v46, off, s[60:63], 0 offset:200 ; 4-byte Folded Spill
	buffer_store_dword v47, off, s[60:63], 0 offset:204 ; 4-byte Folded Spill
	s_mov_b32 s45, 0xbfe58eea
	s_mov_b32 s44, s46
	v_add_f64 v[46:47], v[170:171], v[0:1]
	v_fma_f64 v[0:1], v[241:242], s[28:29], -v[178:179]
	v_fma_f64 v[170:171], v[241:242], s[28:29], v[178:179]
	v_mul_f64 v[178:179], v[10:11], s[44:45]
	v_fma_f64 v[195:196], v[207:208], s[30:31], v[180:181]
	v_add_f64 v[185:186], v[221:222], v[185:186]
	v_mul_f64 v[193:194], v[239:240], s[44:45]
	v_fma_f64 v[221:222], v[235:236], s[14:15], v[237:238]
	v_add_f64 v[182:183], v[217:218], v[182:183]
	v_fma_f64 v[217:218], v[247:248], s[30:31], -v[189:190]
	v_add_f64 v[201:202], v[231:232], v[201:202]
	v_fma_f64 v[180:181], v[207:208], s[30:31], -v[180:181]
	;; [unrolled: 2-line block ×3, first 2 shown]
	v_add_f64 v[4:5], v[174:175], v[4:5]
	v_mul_f64 v[174:175], v[6:7], s[12:13]
	v_fma_f64 v[191:192], v[205:206], s[20:21], v[178:179]
	v_add_f64 v[185:186], v[195:196], v[185:186]
	v_mul_f64 v[195:196], v[36:37], s[12:13]
	v_fma_f64 v[199:200], v[249:250], s[8:9], v[199:200]
	v_add_f64 v[182:183], v[221:222], v[182:183]
	v_fma_f64 v[219:220], v[245:246], s[20:21], -v[193:194]
	v_add_f64 v[201:202], v[217:218], v[201:202]
	v_fma_f64 v[178:179], v[205:206], s[20:21], -v[178:179]
	v_add_f64 v[176:177], v[180:181], v[176:177]
	v_add_f64 v[44:45], v[0:1], v[163:164]
	;; [unrolled: 1-line block ×3, first 2 shown]
	v_mul_f64 v[172:173], v[8:9], s[42:43]
	v_fma_f64 v[187:188], v[203:204], s[2:3], v[174:175]
	v_add_f64 v[180:181], v[191:192], v[185:186]
	v_mul_f64 v[185:186], v[38:39], s[42:43]
	v_fma_f64 v[189:190], v[247:248], s[30:31], v[189:190]
	v_add_f64 v[182:183], v[199:200], v[182:183]
	v_fma_f64 v[191:192], v[243:244], s[2:3], -v[195:196]
	v_add_f64 v[199:200], v[219:220], v[201:202]
	v_fma_f64 v[174:175], v[203:204], s[2:3], -v[174:175]
	v_add_f64 v[176:177], v[178:179], v[176:177]
	buffer_store_dword v44, off, s[60:63], 0 offset:208 ; 4-byte Folded Spill
	s_nop 0
	buffer_store_dword v45, off, s[60:63], 0 offset:212 ; 4-byte Folded Spill
	buffer_store_dword v46, off, s[60:63], 0 offset:216 ; 4-byte Folded Spill
	;; [unrolled: 1-line block ×3, first 2 shown]
	v_add_f64 v[46:47], v[165:166], v[168:169]
	v_add_f64 v[44:45], v[170:171], v[4:5]
	v_fma_f64 v[178:179], v[197:198], s[34:35], v[172:173]
	v_add_f64 v[180:181], v[187:188], v[180:181]
	v_add_f64 v[182:183], v[189:190], v[182:183]
	v_fma_f64 v[189:190], v[241:242], s[34:35], -v[185:186]
	v_add_f64 v[191:192], v[191:192], v[199:200]
	v_fma_f64 v[172:173], v[197:198], s[34:35], -v[172:173]
	v_add_f64 v[174:175], v[174:175], v[176:177]
	v_mul_f64 v[168:169], v[223:224], s[26:27]
	v_mul_f64 v[170:171], v[18:19], s[26:27]
	buffer_store_dword v44, off, s[60:63], 0 offset:224 ; 4-byte Folded Spill
	s_nop 0
	buffer_store_dword v45, off, s[60:63], 0 offset:228 ; 4-byte Folded Spill
	buffer_store_dword v46, off, s[60:63], 0 offset:232 ; 4-byte Folded Spill
	;; [unrolled: 1-line block ×3, first 2 shown]
	v_add_f64 v[46:47], v[178:179], v[180:181]
	s_mov_b32 s57, 0x3fe0d888
	v_add_f64 v[44:45], v[189:190], v[191:192]
	s_mov_b32 s56, s22
	v_fma_f64 v[187:188], v[245:246], s[20:21], v[193:194]
	v_add_f64 v[219:220], v[172:173], v[174:175]
	v_mul_f64 v[172:173], v[233:234], s[56:57]
	v_fma_f64 v[176:177], v[215:216], s[28:29], v[168:169]
	v_mul_f64 v[178:179], v[40:41], s[56:57]
	v_fma_f64 v[180:181], v[227:228], s[28:29], -v[170:171]
	buffer_store_dword v44, off, s[60:63], 0 offset:272 ; 4-byte Folded Spill
	s_nop 0
	buffer_store_dword v45, off, s[60:63], 0 offset:276 ; 4-byte Folded Spill
	buffer_store_dword v46, off, s[60:63], 0 offset:280 ; 4-byte Folded Spill
	;; [unrolled: 1-line block ×3, first 2 shown]
	v_mov_b32_e32 v45, v17
	v_mov_b32_e32 v44, v16
	v_add_f64 v[163:164], v[187:188], v[182:183]
	v_fma_f64 v[4:5], v[241:242], s[34:35], v[185:186]
	v_mul_f64 v[182:183], v[44:45], s[46:47]
	v_fma_f64 v[185:186], v[211:212], s[8:9], v[172:173]
	v_fma_f64 v[168:169], v[215:216], s[28:29], -v[168:169]
	v_add_f64 v[176:177], v[98:99], v[176:177]
	v_mul_f64 v[187:188], v[42:43], s[46:47]
	v_fma_f64 v[189:190], v[225:226], s[8:9], -v[178:179]
	v_add_f64 v[180:181], v[96:97], v[180:181]
	s_mov_b32 s49, 0xbfeca52d
	s_mov_b32 s48, s42
	v_fma_f64 v[0:1], v[243:244], s[2:3], v[195:196]
	v_mul_f64 v[191:192], v[14:15], s[48:49]
	v_fma_f64 v[193:194], v[213:214], s[20:21], v[182:183]
	v_fma_f64 v[172:173], v[211:212], s[8:9], -v[172:173]
	v_add_f64 v[168:169], v[98:99], v[168:169]
	v_add_f64 v[176:177], v[185:186], v[176:177]
	v_mul_f64 v[185:186], v[160:161], s[48:49]
	v_fma_f64 v[195:196], v[235:236], s[20:21], -v[187:188]
	v_add_f64 v[180:181], v[189:190], v[180:181]
	v_mul_f64 v[189:190], v[12:13], s[12:13]
	v_fma_f64 v[199:200], v[209:210], s[34:35], v[191:192]
	v_fma_f64 v[182:183], v[213:214], s[20:21], -v[182:183]
	v_add_f64 v[168:169], v[172:173], v[168:169]
	v_add_f64 v[172:173], v[193:194], v[176:177]
	v_mul_f64 v[176:177], v[253:254], s[12:13]
	v_fma_f64 v[193:194], v[249:250], s[34:35], -v[185:186]
	v_add_f64 v[180:181], v[195:196], v[180:181]
	;; [unrolled: 8-line block ×3, first 2 shown]
	v_mul_f64 v[165:166], v[6:7], s[36:37]
	v_fma_f64 v[193:194], v[205:206], s[30:31], v[195:196]
	v_fma_f64 v[189:190], v[207:208], s[2:3], -v[189:190]
	v_fma_f64 v[170:171], v[227:228], s[28:29], v[170:171]
	v_add_f64 v[168:169], v[191:192], v[168:169]
	v_add_f64 v[172:173], v[201:202], v[172:173]
	v_mul_f64 v[201:202], v[36:37], s[36:37]
	v_fma_f64 v[191:192], v[245:246], s[30:31], -v[182:183]
	v_add_f64 v[180:181], v[199:200], v[180:181]
	v_add_f64 v[0:1], v[0:1], v[163:164]
	v_mul_f64 v[163:164], v[8:9], s[24:25]
	v_fma_f64 v[174:175], v[203:204], s[14:15], v[165:166]
	v_fma_f64 v[178:179], v[225:226], s[8:9], v[178:179]
	v_add_f64 v[170:171], v[96:97], v[170:171]
	v_add_f64 v[168:169], v[189:190], v[168:169]
	;; [unrolled: 1-line block ×3, first 2 shown]
	v_mul_f64 v[193:194], v[38:39], s[24:25]
	v_fma_f64 v[189:190], v[243:244], s[14:15], -v[201:202]
	v_add_f64 v[180:181], v[191:192], v[180:181]
	v_fma_f64 v[195:196], v[205:206], s[30:31], -v[195:196]
	v_fma_f64 v[165:166], v[203:204], s[14:15], -v[165:166]
	v_add_f64 v[170:171], v[178:179], v[170:171]
	v_fma_f64 v[178:179], v[197:198], s[10:11], v[163:164]
	v_add_f64 v[172:173], v[174:175], v[172:173]
	v_fma_f64 v[191:192], v[241:242], s[10:11], -v[193:194]
	v_fma_f64 v[187:188], v[235:236], s[20:21], v[187:188]
	v_add_f64 v[180:181], v[189:190], v[180:181]
	v_add_f64 v[168:169], v[195:196], v[168:169]
	v_mov_b32_e32 v196, v2
	v_add_f64 v[217:218], v[4:5], v[0:1]
	v_fma_f64 v[163:164], v[197:198], s[10:11], -v[163:164]
	v_add_f64 v[4:5], v[178:179], v[172:173]
	v_fma_f64 v[185:186], v[249:250], s[34:35], v[185:186]
	v_add_f64 v[170:171], v[187:188], v[170:171]
	v_add_f64 v[2:3], v[191:192], v[180:181]
	;; [unrolled: 1-line block ×3, first 2 shown]
	v_mul_f64 v[0:1], v[223:224], s[40:41]
	v_mul_f64 v[168:169], v[18:19], s[40:41]
	v_mov_b32_e32 v46, v239
	v_mov_b32_e32 v47, v240
	;; [unrolled: 1-line block ×4, first 2 shown]
	buffer_store_dword v217, off, s[60:63], 0 offset:256 ; 4-byte Folded Spill
	s_nop 0
	buffer_store_dword v218, off, s[60:63], 0 offset:260 ; 4-byte Folded Spill
	buffer_store_dword v219, off, s[60:63], 0 offset:264 ; 4-byte Folded Spill
	buffer_store_dword v220, off, s[60:63], 0 offset:268 ; 4-byte Folded Spill
	buffer_store_dword v2, off, s[60:63], 0 offset:240 ; 4-byte Folded Spill
	s_nop 0
	buffer_store_dword v3, off, s[60:63], 0 offset:244 ; 4-byte Folded Spill
	buffer_store_dword v4, off, s[60:63], 0 offset:248 ; 4-byte Folded Spill
	;; [unrolled: 1-line block ×3, first 2 shown]
	v_mov_b32_e32 v39, v19
	v_fma_f64 v[4:5], v[247:248], s[2:3], v[176:177]
	v_mov_b32_e32 v38, v18
	v_add_f64 v[170:171], v[185:186], v[170:171]
	v_add_f64 v[18:19], v[163:164], v[165:166]
	v_mul_f64 v[165:166], v[233:234], s[12:13]
	v_fma_f64 v[176:177], v[215:216], s[30:31], v[0:1]
	v_fma_f64 v[178:179], v[245:246], s[30:31], v[182:183]
	v_mul_f64 v[180:181], v[40:41], s[12:13]
	v_fma_f64 v[182:183], v[227:228], s[30:31], -v[168:169]
	v_fma_f64 v[163:164], v[241:242], s[10:11], v[193:194]
	v_add_f64 v[4:5], v[4:5], v[170:171]
	v_mul_f64 v[185:186], v[44:45], s[52:53]
	v_fma_f64 v[187:188], v[211:212], s[2:3], v[165:166]
	v_add_f64 v[176:177], v[98:99], v[176:177]
	v_mul_f64 v[199:200], v[42:43], s[52:53]
	v_fma_f64 v[192:193], v[225:226], s[2:3], -v[180:181]
	v_add_f64 v[182:183], v[96:97], v[182:183]
	v_fma_f64 v[170:171], v[243:244], s[14:15], v[201:202]
	v_add_f64 v[4:5], v[178:179], v[4:5]
	v_fma_f64 v[0:1], v[215:216], s[30:31], -v[0:1]
	v_mul_f64 v[178:179], v[14:15], s[38:39]
	v_fma_f64 v[194:195], v[213:214], s[28:29], v[185:186]
	v_add_f64 v[176:177], v[187:188], v[176:177]
	v_mul_f64 v[201:202], v[160:161], s[38:39]
	v_fma_f64 v[187:188], v[235:236], s[28:29], -v[199:200]
	v_add_f64 v[182:183], v[192:193], v[182:183]
	v_mov_b32_e32 v221, v253
	v_mov_b32_e32 v222, v254
	;; [unrolled: 1-line block ×6, first 2 shown]
	v_fma_f64 v[165:166], v[211:212], s[2:3], -v[165:166]
	v_add_f64 v[0:1], v[98:99], v[0:1]
	v_mul_f64 v[192:193], v[12:13], s[48:49]
	v_fma_f64 v[217:218], v[209:210], s[14:15], v[178:179]
	v_add_f64 v[176:177], v[194:195], v[176:177]
	v_mul_f64 v[219:220], v[36:37], s[48:49]
	v_fma_f64 v[194:195], v[249:250], s[14:15], -v[201:202]
	v_add_f64 v[182:183], v[187:188], v[182:183]
	v_fma_f64 v[185:186], v[213:214], s[28:29], -v[185:186]
	v_add_f64 v[0:1], v[165:166], v[0:1]
	v_mul_f64 v[165:166], v[10:11], s[22:23]
	v_fma_f64 v[187:188], v[207:208], s[34:35], v[192:193]
	v_add_f64 v[176:177], v[217:218], v[176:177]
	v_mul_f64 v[217:218], v[46:47], s[22:23]
	v_fma_f64 v[221:222], v[247:248], s[34:35], -v[219:220]
	v_add_f64 v[182:183], v[194:195], v[182:183]
	;; [unrolled: 8-line block ×3, first 2 shown]
	v_mov_b32_e32 v2, v8
	v_mov_b32_e32 v3, v9
	v_add_f64 v[4:5], v[170:171], v[4:5]
	v_fma_f64 v[192:193], v[207:208], s[34:35], -v[192:193]
	v_add_f64 v[0:1], v[178:179], v[0:1]
	v_mul_f64 v[178:179], v[2:3], s[46:47]
	v_fma_f64 v[221:222], v[203:204], s[10:11], v[185:186]
	v_add_f64 v[176:177], v[194:195], v[176:177]
	v_mul_f64 v[231:232], v[239:240], s[46:47]
	v_fma_f64 v[194:195], v[243:244], s[10:11], -v[229:230]
	v_add_f64 v[182:183], v[187:188], v[182:183]
	v_add_f64 v[16:17], v[163:164], v[4:5]
	;; [unrolled: 1-line block ×3, first 2 shown]
	v_fma_f64 v[170:171], v[197:198], s[20:21], v[178:179]
	buffer_store_dword v16, off, s[60:63], 0 offset:304 ; 4-byte Folded Spill
	s_nop 0
	buffer_store_dword v17, off, s[60:63], 0 offset:308 ; 4-byte Folded Spill
	buffer_store_dword v18, off, s[60:63], 0 offset:312 ; 4-byte Folded Spill
	;; [unrolled: 1-line block ×3, first 2 shown]
	v_add_f64 v[176:177], v[221:222], v[176:177]
	v_fma_f64 v[192:193], v[241:242], s[20:21], -v[231:232]
	v_add_f64 v[182:183], v[194:195], v[182:183]
	v_fma_f64 v[165:166], v[205:206], s[8:9], -v[165:166]
	v_fma_f64 v[168:169], v[227:228], s[30:31], v[168:169]
	v_mul_f64 v[163:164], v[223:224], s[48:49]
	v_fma_f64 v[185:186], v[203:204], s[10:11], -v[185:186]
	v_fma_f64 v[4:5], v[225:226], s[2:3], v[180:181]
	v_add_f64 v[18:19], v[170:171], v[176:177]
	v_mul_f64 v[176:177], v[233:234], s[24:25]
	v_add_f64 v[16:17], v[192:193], v[182:183]
	buffer_store_dword v16, off, s[60:63], 0 offset:288 ; 4-byte Folded Spill
	s_nop 0
	buffer_store_dword v17, off, s[60:63], 0 offset:292 ; 4-byte Folded Spill
	buffer_store_dword v18, off, s[60:63], 0 offset:296 ; 4-byte Folded Spill
	;; [unrolled: 1-line block ×4, first 2 shown]
	s_nop 0
	buffer_store_dword v41, off, s[60:63], 0 offset:340 ; 4-byte Folded Spill
	buffer_store_dword v42, off, s[60:63], 0 offset:344 ; 4-byte Folded Spill
	s_nop 0
	buffer_store_dword v43, off, s[60:63], 0 offset:348 ; 4-byte Folded Spill
	v_add_f64 v[0:1], v[165:166], v[0:1]
	v_add_f64 v[165:166], v[96:97], v[168:169]
	v_fma_f64 v[168:169], v[197:198], s[20:21], -v[178:179]
	v_fma_f64 v[178:179], v[215:216], s[34:35], v[163:164]
	s_mov_b32 s51, 0x3fc7851a
	s_mov_b32 s50, s12
	v_fma_f64 v[170:171], v[235:236], s[28:29], v[199:200]
	v_mul_f64 v[180:181], v[38:39], s[48:49]
	v_add_f64 v[0:1], v[185:186], v[0:1]
	v_add_f64 v[4:5], v[4:5], v[165:166]
	v_mul_f64 v[182:183], v[44:45], s[50:51]
	v_fma_f64 v[185:186], v[211:212], s[10:11], v[176:177]
	v_add_f64 v[178:179], v[98:99], v[178:179]
	v_fma_f64 v[165:166], v[249:250], s[14:15], v[201:202]
	v_fma_f64 v[199:200], v[247:248], s[34:35], v[219:220]
	v_fma_f64 v[219:220], v[227:228], s[34:35], -v[180:181]
	v_mul_f64 v[221:222], v[14:15], s[52:53]
	v_add_f64 v[4:5], v[170:171], v[4:5]
	v_fma_f64 v[170:171], v[241:242], s[20:21], v[231:232]
	v_fma_f64 v[231:232], v[213:214], s[2:3], v[182:183]
	v_add_f64 v[178:179], v[185:186], v[178:179]
	v_mul_f64 v[237:238], v[12:13], s[46:47]
	v_mov_b32_e32 v194, v11
	v_add_f64 v[219:220], v[96:97], v[219:220]
	v_fma_f64 v[251:252], v[209:210], s[28:29], v[221:222]
	v_add_f64 v[4:5], v[165:166], v[4:5]
	v_fma_f64 v[165:166], v[245:246], s[8:9], v[217:218]
	v_mov_b32_e32 v193, v10
	v_add_f64 v[178:179], v[231:232], v[178:179]
	v_fma_f64 v[8:9], v[207:208], s[20:21], v[237:238]
	v_fma_f64 v[163:164], v[215:216], s[34:35], -v[163:164]
	v_fma_f64 v[176:177], v[211:212], s[10:11], -v[176:177]
	v_mov_b32_e32 v192, v15
	v_add_f64 v[4:5], v[199:200], v[4:5]
	v_fma_f64 v[199:200], v[243:244], s[10:11], v[229:230]
	v_mul_f64 v[229:230], v[160:161], s[52:53]
	v_mov_b32_e32 v188, v13
	v_mov_b32_e32 v191, v14
	v_add_f64 v[163:164], v[98:99], v[163:164]
	v_mov_b32_e32 v187, v12
	v_fma_f64 v[182:183], v[213:214], s[2:3], -v[182:183]
	v_add_f64 v[4:5], v[165:166], v[4:5]
	v_fma_f64 v[221:222], v[209:210], s[28:29], -v[221:222]
	v_fma_f64 v[165:166], v[249:250], s[28:29], -v[229:230]
	v_fma_f64 v[18:19], v[227:228], s[34:35], v[180:181]
	v_mul_f64 v[180:181], v[233:234], s[40:41]
	v_add_f64 v[163:164], v[176:177], v[163:164]
	v_mov_b32_e32 v190, v7
	v_mov_b32_e32 v174, v3
	v_add_f64 v[4:5], v[199:200], v[4:5]
	v_mov_b32_e32 v189, v6
	v_mov_b32_e32 v173, v2
	v_add_f64 v[18:19], v[96:97], v[18:19]
	v_mov_b32_e32 v51, v31
	v_add_f64 v[182:183], v[182:183], v[163:164]
	v_mov_b32_e32 v50, v30
	v_mov_b32_e32 v49, v29
	v_add_f64 v[163:164], v[170:171], v[4:5]
	v_mul_f64 v[4:5], v[223:224], s[44:45]
	v_mov_b32_e32 v48, v28
	v_mov_b32_e32 v31, v23
	;; [unrolled: 1-line block ×5, first 2 shown]
	v_mul_f64 v[20:21], v[36:37], s[56:57]
	v_mul_f64 v[199:200], v[239:240], s[22:23]
	v_add_f64 v[106:107], v[98:99], v[106:107]
	v_add_f64 v[104:105], v[96:97], v[104:105]
	v_add_f64 v[106:107], v[110:111], v[106:107]
	v_add_f64 v[104:105], v[108:109], v[104:105]
	v_mul_f64 v[201:202], v[40:41], s[24:25]
	v_mul_f64 v[185:186], v[42:43], s[50:51]
	v_add_f64 v[104:105], v[116:117], v[104:105]
	v_mul_f64 v[116:117], v[46:47], s[24:25]
	v_fma_f64 v[217:218], v[225:226], s[10:11], -v[201:202]
	v_fma_f64 v[231:232], v[235:236], s[2:3], -v[185:186]
	v_add_f64 v[104:105], v[128:129], v[104:105]
	v_mul_f64 v[128:129], v[160:161], s[40:41]
	v_add_f64 v[217:218], v[217:218], v[219:220]
	v_mul_f64 v[219:220], v[10:11], s[36:37]
	v_add_f64 v[10:11], v[251:252], v[178:179]
	v_mul_f64 v[178:179], v[36:37], s[46:47]
	v_add_f64 v[217:218], v[231:232], v[217:218]
	v_mul_f64 v[231:232], v[6:7], s[40:41]
	v_fma_f64 v[251:252], v[205:206], s[14:15], v[219:220]
	v_add_f64 v[8:9], v[8:9], v[10:11]
	v_fma_f64 v[12:13], v[247:248], s[20:21], -v[178:179]
	v_mul_f64 v[10:11], v[46:47], s[36:37]
	v_mul_f64 v[6:7], v[160:161], s[12:13]
	v_fma_f64 v[178:179], v[247:248], s[20:21], v[178:179]
	v_add_f64 v[14:15], v[165:166], v[217:218]
	v_mul_f64 v[217:218], v[2:3], s[22:23]
	v_fma_f64 v[165:166], v[203:204], s[30:31], v[231:232]
	v_add_f64 v[8:9], v[251:252], v[8:9]
	v_mul_f64 v[251:252], v[253:254], s[40:41]
	v_fma_f64 v[176:177], v[245:246], s[14:15], -v[10:11]
	v_mul_f64 v[2:3], v[187:188], s[56:57]
	v_fma_f64 v[22:23], v[249:250], s[2:3], -v[6:7]
	v_add_f64 v[12:13], v[12:13], v[14:15]
	v_fma_f64 v[14:15], v[197:198], s[8:9], v[217:218]
	v_fma_f64 v[10:11], v[245:246], s[14:15], v[10:11]
	v_add_f64 v[8:9], v[165:166], v[8:9]
	v_add_f64 v[165:166], v[168:169], v[0:1]
	v_fma_f64 v[0:1], v[207:208], s[20:21], -v[237:238]
	v_fma_f64 v[16:17], v[243:244], s[30:31], -v[251:252]
	;; [unrolled: 1-line block ×3, first 2 shown]
	v_add_f64 v[12:13], v[176:177], v[12:13]
	v_fma_f64 v[176:177], v[215:216], s[20:21], v[4:5]
	v_fma_f64 v[219:220], v[211:212], s[30:31], v[180:181]
	v_add_f64 v[170:171], v[14:15], v[8:9]
	v_add_f64 v[8:9], v[221:222], v[182:183]
	v_fma_f64 v[182:183], v[225:226], s[10:11], v[201:202]
	v_mul_f64 v[201:202], v[38:39], s[44:45]
	v_fma_f64 v[4:5], v[215:216], s[20:21], -v[4:5]
	v_add_f64 v[12:13], v[16:17], v[12:13]
	v_fma_f64 v[16:17], v[197:198], s[8:9], -v[217:218]
	v_mul_f64 v[217:218], v[44:45], s[24:25]
	v_add_f64 v[176:177], v[98:99], v[176:177]
	v_add_f64 v[0:1], v[0:1], v[8:9]
	v_fma_f64 v[8:9], v[203:204], s[30:31], -v[231:232]
	v_fma_f64 v[221:222], v[227:228], s[20:21], -v[201:202]
	v_add_f64 v[18:19], v[182:183], v[18:19]
	v_mul_f64 v[231:232], v[191:192], s[12:13]
	v_fma_f64 v[14:15], v[241:242], s[8:9], -v[199:200]
	v_fma_f64 v[182:183], v[213:214], s[10:11], v[217:218]
	v_add_f64 v[176:177], v[219:220], v[176:177]
	v_add_f64 v[0:1], v[168:169], v[0:1]
	v_fma_f64 v[168:169], v[235:236], s[2:3], v[185:186]
	v_mul_f64 v[185:186], v[40:41], s[40:41]
	v_fma_f64 v[219:220], v[249:250], s[28:29], v[229:230]
	v_mul_f64 v[229:230], v[42:43], s[24:25]
	v_add_f64 v[221:222], v[96:97], v[221:222]
	v_mov_b32_e32 v43, v35
	v_add_f64 v[176:177], v[182:183], v[176:177]
	v_add_f64 v[0:1], v[8:9], v[0:1]
	;; [unrolled: 1-line block ×3, first 2 shown]
	v_fma_f64 v[237:238], v[225:226], s[30:31], -v[185:186]
	v_fma_f64 v[168:169], v[209:210], s[2:3], v[231:232]
	v_fma_f64 v[182:183], v[235:236], s[10:11], -v[229:230]
	v_mul_f64 v[8:9], v[253:254], s[42:43]
	v_mov_b32_e32 v42, v34
	v_mov_b32_e32 v41, v33
	;; [unrolled: 1-line block ×3, first 2 shown]
	v_add_f64 v[18:19], v[219:220], v[18:19]
	v_add_f64 v[221:222], v[237:238], v[221:222]
	v_mul_f64 v[219:220], v[193:194], s[52:53]
	v_fma_f64 v[237:238], v[207:208], s[8:9], v[2:3]
	v_add_f64 v[168:169], v[168:169], v[176:177]
	v_mov_b32_e32 v35, v27
	v_mov_b32_e32 v34, v26
	;; [unrolled: 1-line block ×3, first 2 shown]
	v_add_f64 v[18:19], v[178:179], v[18:19]
	v_add_f64 v[176:177], v[182:183], v[221:222]
	v_fma_f64 v[178:179], v[205:206], s[28:29], v[219:220]
	v_fma_f64 v[182:183], v[243:244], s[30:31], v[251:252]
	v_add_f64 v[168:169], v[237:238], v[168:169]
	v_mul_f64 v[237:238], v[46:47], s[52:53]
	v_fma_f64 v[251:252], v[247:248], s[8:9], -v[20:21]
	v_mul_f64 v[221:222], v[189:190], s[42:43]
	v_mov_b32_e32 v32, v24
	v_add_f64 v[22:23], v[22:23], v[176:177]
	v_fma_f64 v[26:27], v[243:244], s[34:35], -v[8:9]
	v_add_f64 v[4:5], v[98:99], v[4:5]
	v_add_f64 v[168:169], v[178:179], v[168:169]
	v_fma_f64 v[178:179], v[245:246], s[28:29], -v[237:238]
	v_fma_f64 v[2:3], v[207:208], s[8:9], -v[2:3]
	v_fma_f64 v[176:177], v[203:204], s[34:35], v[221:222]
	v_add_f64 v[10:11], v[10:11], v[18:19]
	v_add_f64 v[22:23], v[251:252], v[22:23]
	v_fma_f64 v[199:200], v[241:242], s[8:9], v[199:200]
	v_mul_f64 v[18:19], v[173:174], s[38:39]
	v_fma_f64 v[6:7], v[249:250], s[2:3], v[6:7]
	v_mul_f64 v[24:25], v[239:240], s[38:39]
	v_fma_f64 v[8:9], v[243:244], s[34:35], v[8:9]
	v_add_f64 v[251:252], v[176:177], v[168:169]
	v_add_f64 v[168:169], v[14:15], v[12:13]
	;; [unrolled: 1-line block ×4, first 2 shown]
	v_fma_f64 v[0:1], v[211:212], s[30:31], -v[180:181]
	v_fma_f64 v[180:181], v[225:226], s[30:31], v[185:186]
	v_fma_f64 v[185:186], v[209:210], s[2:3], -v[231:232]
	v_fma_f64 v[16:17], v[227:228], s[20:21], v[201:202]
	v_add_f64 v[10:11], v[182:183], v[10:11]
	v_fma_f64 v[182:183], v[197:198], s[14:15], v[18:19]
	v_add_f64 v[12:13], v[26:27], v[22:23]
	v_fma_f64 v[22:23], v[213:214], s[10:11], -v[217:218]
	v_add_f64 v[0:1], v[0:1], v[4:5]
	v_mul_f64 v[26:27], v[223:224], s[36:37]
	v_fma_f64 v[4:5], v[205:206], s[28:29], -v[219:220]
	v_add_f64 v[16:17], v[96:97], v[16:17]
	v_add_f64 v[176:177], v[199:200], v[10:11]
	v_mul_f64 v[199:200], v[233:234], s[44:45]
	v_fma_f64 v[14:15], v[197:198], s[14:15], -v[18:19]
	v_fma_f64 v[18:19], v[203:204], s[34:35], -v[221:222]
	v_add_f64 v[0:1], v[22:23], v[0:1]
	v_fma_f64 v[201:202], v[215:216], s[14:15], v[26:27]
	v_fma_f64 v[22:23], v[235:236], s[10:11], v[229:230]
	v_add_f64 v[16:17], v[180:181], v[16:17]
	v_mul_f64 v[180:181], v[44:45], s[48:49]
	v_fma_f64 v[217:218], v[211:212], s[20:21], v[199:200]
	v_fma_f64 v[26:27], v[215:216], s[14:15], -v[26:27]
	v_fma_f64 v[10:11], v[241:242], s[14:15], -v[24:25]
	v_add_f64 v[0:1], v[185:186], v[0:1]
	v_add_f64 v[201:202], v[98:99], v[201:202]
	;; [unrolled: 1-line block ×4, first 2 shown]
	v_mul_f64 v[22:23], v[191:192], s[40:41]
	v_fma_f64 v[108:109], v[213:214], s[34:35], v[180:181]
	v_add_f64 v[26:27], v[98:99], v[26:27]
	v_add_f64 v[0:1], v[2:3], v[0:1]
	v_fma_f64 v[2:3], v[247:248], s[8:9], v[20:21]
	v_add_f64 v[20:21], v[118:119], v[106:107]
	v_mul_f64 v[118:119], v[36:37], s[26:27]
	buffer_load_dword v36, off, s[60:63], 0 offset:336 ; 4-byte Folded Reload
	buffer_load_dword v37, off, s[60:63], 0 offset:340 ; 4-byte Folded Reload
	v_add_f64 v[110:111], v[217:218], v[201:202]
	v_add_f64 v[6:7], v[6:7], v[16:17]
	v_mul_f64 v[16:17], v[187:188], s[26:27]
	v_add_f64 v[0:1], v[4:5], v[0:1]
	v_fma_f64 v[106:107], v[209:210], s[30:31], v[22:23]
	v_add_f64 v[20:21], v[130:131], v[20:21]
	v_fma_f64 v[4:5], v[245:246], s[28:29], v[237:238]
	v_fma_f64 v[22:23], v[209:210], s[30:31], -v[22:23]
	v_add_f64 v[108:109], v[108:109], v[110:111]
	v_add_f64 v[2:3], v[2:3], v[6:7]
	v_fma_f64 v[110:111], v[207:208], s[28:29], v[16:17]
	v_add_f64 v[0:1], v[18:19], v[0:1]
	v_mul_f64 v[6:7], v[193:194], s[24:25]
	v_add_f64 v[18:19], v[134:135], v[20:21]
	v_add_f64 v[20:21], v[132:133], v[104:105]
	v_fma_f64 v[132:133], v[211:212], s[20:21], -v[199:200]
	v_add_f64 v[106:107], v[106:107], v[108:109]
	v_add_f64 v[4:5], v[4:5], v[2:3]
	v_fma_f64 v[16:17], v[207:208], s[28:29], -v[16:17]
	v_add_f64 v[2:3], v[14:15], v[0:1]
	v_fma_f64 v[108:109], v[205:206], s[10:11], v[6:7]
	v_add_f64 v[14:15], v[138:139], v[18:19]
	v_add_f64 v[18:19], v[136:137], v[20:21]
	;; [unrolled: 1-line block ×4, first 2 shown]
	v_mul_f64 v[110:111], v[38:39], s[36:37]
	v_mul_f64 v[104:105], v[189:190], s[22:23]
	v_fma_f64 v[6:7], v[205:206], s[10:11], -v[6:7]
	v_fma_f64 v[0:1], v[241:242], s[14:15], v[24:25]
	v_add_f64 v[14:15], v[146:147], v[14:15]
	v_add_f64 v[18:19], v[144:145], v[18:19]
	;; [unrolled: 1-line block ×4, first 2 shown]
	v_mul_f64 v[108:109], v[253:254], s[22:23]
	v_mul_f64 v[8:9], v[173:174], s[12:13]
	v_fma_f64 v[20:21], v[203:204], s[8:9], v[104:105]
	v_mul_f64 v[106:107], v[239:240], s[12:13]
	v_add_f64 v[14:15], v[102:103], v[14:15]
	v_add_f64 v[18:19], v[100:101], v[18:19]
	v_fma_f64 v[100:101], v[227:228], s[14:15], v[110:111]
	v_fma_f64 v[110:111], v[227:228], s[14:15], -v[110:111]
	v_add_f64 v[0:1], v[0:1], v[4:5]
	v_mul_lo_u16_e32 v4, 17, v255
	v_add_f64 v[20:21], v[20:21], v[24:25]
	v_add_f64 v[14:15], v[114:115], v[14:15]
	;; [unrolled: 1-line block ×5, first 2 shown]
	v_fma_f64 v[110:111], v[213:214], s[34:35], -v[180:181]
	v_add_f64 v[180:181], v[10:11], v[12:13]
	v_add_f64 v[14:15], v[122:123], v[14:15]
	;; [unrolled: 1-line block ×4, first 2 shown]
	v_fma_f64 v[110:111], v[249:250], s[30:31], -v[128:129]
	v_add_f64 v[14:15], v[126:127], v[14:15]
	v_add_f64 v[18:19], v[124:125], v[18:19]
	v_add_f64 v[22:23], v[22:23], v[26:27]
	v_fma_f64 v[26:27], v[247:248], s[28:29], v[118:119]
	v_add_f64 v[14:15], v[142:143], v[14:15]
	v_add_f64 v[18:19], v[140:141], v[18:19]
	;; [unrolled: 1-line block ×3, first 2 shown]
	v_fma_f64 v[22:23], v[245:246], s[10:11], v[116:117]
	v_add_f64 v[14:15], v[150:151], v[14:15]
	v_add_f64 v[18:19], v[148:149], v[18:19]
	s_waitcnt vmcnt(0)
	v_mul_f64 v[130:131], v[36:37], s[44:45]
	buffer_load_dword v36, off, s[60:63], 0 offset:344 ; 4-byte Folded Reload
	buffer_load_dword v37, off, s[60:63], 0 offset:348 ; 4-byte Folded Reload
	v_add_f64 v[6:7], v[6:7], v[16:17]
	buffer_load_dword v44, off, s[60:63], 0 offset:320 ; 4-byte Folded Reload
	buffer_load_dword v45, off, s[60:63], 0 offset:324 ; 4-byte Folded Reload
	;; [unrolled: 1-line block ×8, first 2 shown]
	v_fma_f64 v[16:17], v[243:244], s[8:9], v[108:109]
	v_add_f64 v[14:15], v[154:155], v[14:15]
	v_add_f64 v[18:19], v[152:153], v[18:19]
	v_fma_f64 v[98:99], v[225:226], s[20:21], v[130:131]
	v_fma_f64 v[112:113], v[225:226], s[20:21], -v[130:131]
	v_add_f64 v[14:15], v[158:159], v[14:15]
	v_add_f64 v[18:19], v[156:157], v[18:19]
	;; [unrolled: 1-line block ×4, first 2 shown]
	s_waitcnt vmcnt(8)
	v_mul_f64 v[102:103], v[36:37], s[48:49]
	v_fma_f64 v[114:115], v[235:236], s[34:35], v[102:103]
	v_fma_f64 v[100:101], v[235:236], s[34:35], -v[102:103]
	v_fma_f64 v[102:103], v[249:250], s[30:31], v[128:129]
	v_add_f64 v[98:99], v[114:115], v[98:99]
	v_add_f64 v[96:97], v[100:101], v[96:97]
	v_fma_f64 v[100:101], v[247:248], s[28:29], -v[118:119]
	v_add_f64 v[98:99], v[102:103], v[98:99]
	v_add_f64 v[96:97], v[110:111], v[96:97]
	v_add_f64 v[26:27], v[26:27], v[98:99]
	v_fma_f64 v[98:99], v[245:246], s[10:11], -v[116:117]
	v_add_f64 v[96:97], v[100:101], v[96:97]
	v_fma_f64 v[100:101], v[203:204], s[8:9], -v[104:105]
	buffer_load_dword v201, off, s[60:63], 0 offset:104 ; 4-byte Folded Reload
	buffer_load_dword v202, off, s[60:63], 0 offset:108 ; 4-byte Folded Reload
	;; [unrolled: 1-line block ×4, first 2 shown]
	v_fma_f64 v[104:105], v[241:242], s[2:3], v[106:107]
	v_add_f64 v[22:23], v[22:23], v[26:27]
	v_fma_f64 v[26:27], v[243:244], s[8:9], -v[108:109]
	buffer_load_dword v243, off, s[60:63], 0 offset:24 ; 4-byte Folded Reload
	buffer_load_dword v244, off, s[60:63], 0 offset:28 ; 4-byte Folded Reload
	buffer_load_dword v244, off, s[60:63], 0 offset:32 ; 4-byte Folded Reload
	v_add_f64 v[96:97], v[98:99], v[96:97]
	v_fma_f64 v[98:99], v[197:198], s[2:3], -v[8:9]
	v_add_f64 v[6:7], v[100:101], v[6:7]
	v_fma_f64 v[8:9], v[197:198], s[2:3], v[8:9]
	buffer_load_dword v197, off, s[60:63], 0 offset:84 ; 4-byte Folded Reload
	buffer_load_dword v198, off, s[60:63], 0 offset:88 ; 4-byte Folded Reload
	;; [unrolled: 1-line block ×13, first 2 shown]
	v_add_f64 v[16:17], v[16:17], v[22:23]
	v_add_f64 v[24:25], v[26:27], v[96:97]
	;; [unrolled: 1-line block ×3, first 2 shown]
	v_fma_f64 v[22:23], v[241:242], s[2:3], -v[106:107]
	v_add_f64 v[106:107], v[8:9], v[20:21]
	v_or_b32_e32 v242, 32, v255
	v_or_b32_e32 v241, 64, v255
	v_add_f64 v[96:97], v[104:105], v[16:17]
	v_add_f64 v[104:105], v[22:23], v[24:25]
	v_mov_b32_e32 v24, v32
	v_mov_b32_e32 v20, v28
	;; [unrolled: 1-line block ×16, first 2 shown]
	s_waitcnt vmcnt(5)
	v_add_f64 v[102:103], v[102:103], v[14:15]
	v_add_f64 v[100:101], v[100:101], v[18:19]
	s_waitcnt vmcnt(0)
	v_lshl_add_u32 v4, v4, 4, v5
	ds_write_b128 v4, v[100:103]
	ds_write_b128 v4, v[96:99] offset:16
	ds_write_b128 v4, v[0:3] offset:32
	;; [unrolled: 1-line block ×4, first 2 shown]
	buffer_load_dword v163, off, s[60:63], 0 offset:136 ; 4-byte Folded Reload
	buffer_load_dword v0, off, s[60:63], 0 offset:304 ; 4-byte Folded Reload
	;; [unrolled: 1-line block ×5, first 2 shown]
	s_waitcnt vmcnt(0)
	ds_write_b128 v4, v[0:3] offset:80
	buffer_load_dword v185, off, s[60:63], 0 offset:52 ; 4-byte Folded Reload
	buffer_load_dword v186, off, s[60:63], 0 offset:56 ; 4-byte Folded Reload
	;; [unrolled: 1-line block ×8, first 2 shown]
	s_waitcnt vmcnt(0)
	ds_write_b128 v4, v[0:3] offset:96
	buffer_load_dword v0, off, s[60:63], 0 offset:224 ; 4-byte Folded Reload
	buffer_load_dword v1, off, s[60:63], 0 offset:228 ; 4-byte Folded Reload
	buffer_load_dword v2, off, s[60:63], 0 offset:232 ; 4-byte Folded Reload
	buffer_load_dword v3, off, s[60:63], 0 offset:236 ; 4-byte Folded Reload
	s_waitcnt vmcnt(0)
	ds_write_b128 v4, v[0:3] offset:112
	buffer_load_dword v0, off, s[60:63], 0 offset:192 ; 4-byte Folded Reload
	buffer_load_dword v1, off, s[60:63], 0 offset:196 ; 4-byte Folded Reload
	buffer_load_dword v2, off, s[60:63], 0 offset:200 ; 4-byte Folded Reload
	buffer_load_dword v3, off, s[60:63], 0 offset:204 ; 4-byte Folded Reload
	;; [unrolled: 6-line block ×8, first 2 shown]
	ds_write_b128 v4, v[168:171] offset:224
	ds_write_b128 v4, v[180:183] offset:240
	buffer_load_dword v183, off, s[60:63], 0 offset:100 ; 4-byte Folded Reload
	buffer_load_dword v179, off, s[60:63], 0 offset:36 ; 4-byte Folded Reload
	;; [unrolled: 1-line block ×5, first 2 shown]
	ds_write_b128 v4, v[104:107] offset:256
.LBB0_13:
	s_or_b64 exec, exec, s[0:1]
	s_waitcnt vmcnt(0) lgkmcnt(0)
	s_barrier
	ds_read_b128 v[0:3], v162
	ds_read_b128 v[96:99], v162 offset:544
	ds_read_b128 v[100:103], v162 offset:4352
	;; [unrolled: 1-line block ×15, first 2 shown]
	s_waitcnt lgkmcnt(13)
	v_mul_f64 v[4:5], v[26:27], v[102:103]
	v_mul_f64 v[6:7], v[26:27], v[100:101]
	s_waitcnt lgkmcnt(0)
	s_barrier
	v_mul_f64 v[8:9], v[22:23], v[106:107]
	v_mul_f64 v[10:11], v[22:23], v[104:105]
	v_mul_f64 v[22:23], v[187:188], v[132:133]
	v_fma_f64 v[4:5], v[24:25], v[100:101], v[4:5]
	v_fma_f64 v[6:7], v[24:25], v[102:103], -v[6:7]
	v_mul_f64 v[12:13], v[34:35], v[118:119]
	v_mul_f64 v[14:15], v[34:35], v[116:117]
	;; [unrolled: 1-line block ×3, first 2 shown]
	v_fma_f64 v[8:9], v[20:21], v[104:105], v[8:9]
	v_fma_f64 v[10:11], v[20:21], v[106:107], -v[10:11]
	v_mul_f64 v[20:21], v[187:188], v[134:135]
	v_add_f64 v[4:5], v[0:1], -v[4:5]
	v_add_f64 v[6:7], v[2:3], -v[6:7]
	v_fma_f64 v[106:107], v[185:186], v[134:135], -v[22:23]
	v_fma_f64 v[12:13], v[32:33], v[116:117], v[12:13]
	v_fma_f64 v[14:15], v[32:33], v[118:119], -v[14:15]
	v_add_f64 v[8:9], v[96:97], -v[8:9]
	v_add_f64 v[10:11], v[98:99], -v[10:11]
	v_fma_f64 v[104:105], v[185:186], v[132:133], v[20:21]
	v_fma_f64 v[0:1], v[0:1], 2.0, -v[4:5]
	v_fma_f64 v[2:3], v[2:3], 2.0, -v[6:7]
	v_mul_f64 v[26:27], v[181:182], v[136:137]
	v_add_f64 v[12:13], v[108:109], -v[12:13]
	ds_write_b128 v183, v[0:3]
	ds_write_b128 v183, v[4:7] offset:272
	buffer_load_dword v0, off, s[60:63], 0 offset:12 ; 4-byte Folded Reload
	v_fma_f64 v[20:21], v[96:97], 2.0, -v[8:9]
	v_fma_f64 v[22:23], v[98:99], 2.0, -v[10:11]
	v_add_f64 v[14:15], v[110:111], -v[14:15]
	v_fma_f64 v[116:117], v[179:180], v[136:137], v[24:25]
	v_fma_f64 v[118:119], v[179:180], v[138:139], -v[26:27]
	v_fma_f64 v[24:25], v[108:109], 2.0, -v[12:13]
	v_mul_f64 v[16:17], v[30:31], v[122:123]
	v_mul_f64 v[18:19], v[30:31], v[120:121]
	;; [unrolled: 1-line block ×4, first 2 shown]
	v_fma_f64 v[26:27], v[110:111], 2.0, -v[14:15]
	v_add_f64 v[32:33], v[124:125], -v[104:105]
	v_add_f64 v[96:97], v[128:129], -v[116:117]
	;; [unrolled: 1-line block ×3, first 2 shown]
	v_fma_f64 v[16:17], v[28:29], v[120:121], v[16:17]
	v_fma_f64 v[18:19], v[28:29], v[122:123], -v[18:19]
	v_fma_f64 v[132:133], v[197:198], v[154:155], -v[34:35]
	v_add_f64 v[34:35], v[126:127], -v[106:107]
	v_fma_f64 v[120:121], v[189:190], v[150:151], -v[30:31]
	v_fma_f64 v[108:109], v[124:125], 2.0, -v[32:33]
	v_mul_f64 v[100:101], v[191:192], v[150:151]
	v_mul_f64 v[102:103], v[199:200], v[154:155]
	v_add_f64 v[16:17], v[112:113], -v[16:17]
	v_add_f64 v[18:19], v[114:115], -v[18:19]
	;; [unrolled: 1-line block ×3, first 2 shown]
	v_fma_f64 v[110:111], v[126:127], 2.0, -v[34:35]
	s_mov_b32 s0, 0x667f3bcd
	s_mov_b32 s1, 0xbfe6a09e
	v_fma_f64 v[100:101], v[189:190], v[148:149], v[100:101]
	v_fma_f64 v[122:123], v[197:198], v[152:153], v[102:103]
	v_fma_f64 v[28:29], v[112:113], 2.0, -v[16:17]
	v_fma_f64 v[30:31], v[114:115], 2.0, -v[18:19]
	;; [unrolled: 1-line block ×4, first 2 shown]
	v_add_f64 v[102:103], v[142:143], -v[120:121]
	s_mov_b32 s3, 0x3fe6a09e
	v_add_f64 v[100:101], v[140:141], -v[100:101]
	v_add_f64 v[104:105], v[144:145], -v[122:123]
	v_fma_f64 v[122:123], v[146:147], 2.0, -v[106:107]
	s_mov_b32 s2, s0
	s_mov_b32 s10, 0xa6aea964
	;; [unrolled: 1-line block ×3, first 2 shown]
	v_fma_f64 v[118:119], v[142:143], 2.0, -v[102:103]
	s_mov_b32 s13, 0xbfd87de2
	v_fma_f64 v[116:117], v[140:141], 2.0, -v[100:101]
	v_fma_f64 v[120:121], v[144:145], 2.0, -v[104:105]
	s_mov_b32 s12, s10
	s_mov_b32 s8, 0xcf328d46
	;; [unrolled: 1-line block ×5, first 2 shown]
	s_waitcnt vmcnt(0)
	ds_write_b128 v0, v[20:23]
	ds_write_b128 v0, v[8:11] offset:272
	buffer_load_dword v0, off, s[60:63], 0  ; 4-byte Folded Reload
	s_waitcnt vmcnt(0)
	ds_write_b128 v0, v[24:27]
	ds_write_b128 v0, v[12:15] offset:272
	buffer_load_dword v0, off, s[60:63], 0 offset:4 ; 4-byte Folded Reload
	s_waitcnt vmcnt(0)
	ds_write_b128 v0, v[28:31]
	ds_write_b128 v0, v[16:19] offset:272
	ds_write_b128 v184, v[108:111]
	ds_write_b128 v184, v[32:35] offset:272
	buffer_load_dword v0, off, s[60:63], 0 offset:8 ; 4-byte Folded Reload
	s_waitcnt vmcnt(0)
	ds_write_b128 v0, v[112:115]
	ds_write_b128 v0, v[96:99] offset:272
	buffer_load_dword v0, off, s[60:63], 0 offset:16 ; 4-byte Folded Reload
	s_waitcnt vmcnt(0)
	ds_write_b128 v0, v[116:119]
	ds_write_b128 v0, v[100:103] offset:272
	buffer_load_dword v0, off, s[60:63], 0 offset:20 ; 4-byte Folded Reload
	s_waitcnt vmcnt(0)
	ds_write_b128 v0, v[120:123]
	ds_write_b128 v0, v[104:107] offset:272
	s_waitcnt lgkmcnt(0)
	s_barrier
	ds_read_b128 v[0:3], v162
	ds_read_b128 v[4:7], v162 offset:544
	ds_read_b128 v[8:11], v162 offset:1088
	;; [unrolled: 1-line block ×13, first 2 shown]
	s_waitcnt lgkmcnt(12)
	v_mul_f64 v[124:125], v[46:47], v[6:7]
	v_mul_f64 v[50:51], v[46:47], v[4:5]
	s_waitcnt lgkmcnt(11)
	v_mul_f64 v[46:47], v[38:39], v[8:9]
	s_waitcnt lgkmcnt(10)
	v_mul_f64 v[42:43], v[207:208], v[12:13]
	v_mul_f64 v[126:127], v[38:39], v[10:11]
	;; [unrolled: 1-line block ×3, first 2 shown]
	s_waitcnt lgkmcnt(9)
	v_mul_f64 v[40:41], v[203:204], v[18:19]
	v_mul_f64 v[38:39], v[203:204], v[16:17]
	v_fma_f64 v[4:5], v[44:45], v[4:5], v[124:125]
	v_fma_f64 v[6:7], v[44:45], v[6:7], -v[50:51]
	v_fma_f64 v[10:11], v[36:37], v[10:11], -v[46:47]
	;; [unrolled: 1-line block ×3, first 2 shown]
	s_waitcnt lgkmcnt(8)
	v_mul_f64 v[42:43], v[66:67], v[22:23]
	v_mul_f64 v[44:45], v[66:67], v[20:21]
	s_waitcnt lgkmcnt(7)
	v_mul_f64 v[46:47], v[62:63], v[26:27]
	v_mul_f64 v[48:49], v[62:63], v[24:25]
	s_waitcnt lgkmcnt(6)
	v_mul_f64 v[50:51], v[58:59], v[30:31]
	v_fma_f64 v[8:9], v[36:37], v[8:9], v[126:127]
	v_mul_f64 v[58:59], v[58:59], v[28:29]
	v_fma_f64 v[16:17], v[201:202], v[16:17], v[40:41]
	v_fma_f64 v[18:19], v[201:202], v[18:19], -v[38:39]
	v_fma_f64 v[20:21], v[64:65], v[20:21], v[42:43]
	v_fma_f64 v[22:23], v[64:65], v[22:23], -v[44:45]
	v_fma_f64 v[24:25], v[60:61], v[24:25], v[46:47]
	v_fma_f64 v[26:27], v[60:61], v[26:27], -v[48:49]
	v_fma_f64 v[28:29], v[56:57], v[28:29], v[50:51]
	s_waitcnt lgkmcnt(5)
	v_mul_f64 v[36:37], v[54:55], v[34:35]
	v_mul_f64 v[38:39], v[54:55], v[32:33]
	s_waitcnt lgkmcnt(4)
	v_mul_f64 v[40:41], v[82:83], v[98:99]
	v_mul_f64 v[42:43], v[82:83], v[96:97]
	;; [unrolled: 3-line block ×4, first 2 shown]
	ds_read_b128 v[116:119], v162 offset:7616
	ds_read_b128 v[120:123], v162 offset:8160
	v_fma_f64 v[30:31], v[56:57], v[30:31], -v[58:59]
	v_fma_f64 v[32:33], v[52:53], v[32:33], v[36:37]
	v_fma_f64 v[34:35], v[52:53], v[34:35], -v[38:39]
	v_fma_f64 v[36:37], v[80:81], v[96:97], v[40:41]
	;; [unrolled: 2-line block ×4, first 2 shown]
	v_fma_f64 v[46:47], v[72:73], v[106:107], -v[50:51]
	s_waitcnt lgkmcnt(3)
	v_mul_f64 v[48:49], v[70:71], v[110:111]
	v_mul_f64 v[50:51], v[70:71], v[108:109]
	s_waitcnt lgkmcnt(1)
	v_mul_f64 v[56:57], v[90:91], v[118:119]
	v_mul_f64 v[58:59], v[90:91], v[116:117]
	v_add_f64 v[32:33], v[0:1], -v[32:33]
	v_add_f64 v[34:35], v[2:3], -v[34:35]
	;; [unrolled: 1-line block ×4, first 2 shown]
	v_fma_f64 v[48:49], v[68:69], v[108:109], v[48:49]
	v_fma_f64 v[50:51], v[68:69], v[110:111], -v[50:51]
	v_fma_f64 v[56:57], v[88:89], v[116:117], v[56:57]
	v_fma_f64 v[58:59], v[88:89], v[118:119], -v[58:59]
	v_mul_f64 v[52:53], v[94:95], v[114:115]
	v_mul_f64 v[54:55], v[94:95], v[112:113]
	s_waitcnt lgkmcnt(0)
	v_mul_f64 v[60:61], v[86:87], v[122:123]
	v_mul_f64 v[62:63], v[86:87], v[120:121]
	v_add_f64 v[48:49], v[16:17], -v[48:49]
	v_add_f64 v[50:51], v[18:19], -v[50:51]
	;; [unrolled: 1-line block ×4, first 2 shown]
	v_fma_f64 v[0:1], v[0:1], 2.0, -v[32:33]
	v_fma_f64 v[2:3], v[2:3], 2.0, -v[34:35]
	;; [unrolled: 1-line block ×8, first 2 shown]
	v_fma_f64 v[12:13], v[205:206], v[12:13], v[128:129]
	v_fma_f64 v[52:53], v[92:93], v[112:113], v[52:53]
	v_fma_f64 v[54:55], v[92:93], v[114:115], -v[54:55]
	v_fma_f64 v[60:61], v[84:85], v[120:121], v[60:61]
	v_fma_f64 v[62:63], v[84:85], v[122:123], -v[62:63]
	v_add_f64 v[16:17], v[0:1], -v[16:17]
	v_add_f64 v[18:19], v[2:3], -v[18:19]
	;; [unrolled: 1-line block ×12, first 2 shown]
	v_add_f64 v[50:51], v[32:33], v[50:51]
	v_add_f64 v[48:49], v[34:35], -v[48:49]
	v_add_f64 v[58:59], v[40:41], v[58:59]
	v_add_f64 v[56:57], v[42:43], -v[56:57]
	v_fma_f64 v[0:1], v[0:1], 2.0, -v[16:17]
	v_fma_f64 v[2:3], v[2:3], 2.0, -v[18:19]
	;; [unrolled: 1-line block ×12, first 2 shown]
	v_add_f64 v[54:55], v[36:37], v[54:55]
	v_add_f64 v[52:53], v[38:39], -v[52:53]
	v_add_f64 v[62:63], v[44:45], v[62:63]
	v_add_f64 v[60:61], v[46:47], -v[60:61]
	v_add_f64 v[68:69], v[0:1], -v[8:9]
	;; [unrolled: 1-line block ×3, first 2 shown]
	v_fma_f64 v[8:9], v[58:59], s[2:3], v[50:51]
	v_fma_f64 v[10:11], v[56:57], s[2:3], v[48:49]
	v_fma_f64 v[32:33], v[32:33], 2.0, -v[50:51]
	v_fma_f64 v[34:35], v[34:35], 2.0, -v[48:49]
	;; [unrolled: 1-line block ×4, first 2 shown]
	v_add_f64 v[20:21], v[4:5], -v[20:21]
	v_add_f64 v[22:23], v[6:7], -v[22:23]
	v_add_f64 v[28:29], v[12:13], -v[28:29]
	v_add_f64 v[30:31], v[14:15], -v[30:31]
	v_fma_f64 v[36:37], v[36:37], 2.0, -v[54:55]
	v_fma_f64 v[38:39], v[38:39], 2.0, -v[52:53]
	;; [unrolled: 1-line block ×4, first 2 shown]
	v_fma_f64 v[76:77], v[56:57], s[2:3], v[8:9]
	v_fma_f64 v[78:79], v[58:59], s[0:1], v[10:11]
	v_fma_f64 v[8:9], v[62:63], s[2:3], v[54:55]
	v_fma_f64 v[10:11], v[60:61], s[2:3], v[52:53]
	v_fma_f64 v[4:5], v[4:5], 2.0, -v[20:21]
	v_fma_f64 v[6:7], v[6:7], 2.0, -v[22:23]
	;; [unrolled: 1-line block ×4, first 2 shown]
	v_fma_f64 v[64:65], v[40:41], s[0:1], v[32:33]
	v_fma_f64 v[66:67], v[42:43], s[0:1], v[34:35]
	v_add_f64 v[72:73], v[16:17], v[26:27]
	v_add_f64 v[74:75], v[18:19], -v[24:25]
	v_fma_f64 v[24:25], v[0:1], 2.0, -v[68:69]
	v_fma_f64 v[26:27], v[2:3], 2.0, -v[70:71]
	v_fma_f64 v[0:1], v[44:45], s[0:1], v[36:37]
	v_fma_f64 v[2:3], v[46:47], s[0:1], v[38:39]
	v_add_f64 v[80:81], v[20:21], v[30:31]
	v_add_f64 v[82:83], v[22:23], -v[28:29]
	v_fma_f64 v[60:61], v[60:61], s[2:3], v[8:9]
	v_fma_f64 v[62:63], v[62:63], s[0:1], v[10:11]
	;; [unrolled: 1-line block ×4, first 2 shown]
	v_add_f64 v[56:57], v[4:5], -v[12:13]
	v_add_f64 v[58:59], v[6:7], -v[14:15]
	v_fma_f64 v[46:47], v[46:47], s[2:3], v[0:1]
	v_fma_f64 v[44:45], v[44:45], s[0:1], v[2:3]
	v_fma_f64 v[40:41], v[16:17], 2.0, -v[72:73]
	v_fma_f64 v[42:43], v[18:19], 2.0, -v[74:75]
	;; [unrolled: 1-line block ×14, first 2 shown]
	v_fma_f64 v[20:21], v[10:11], s[0:1], v[40:41]
	v_fma_f64 v[22:23], v[8:9], s[0:1], v[42:43]
	;; [unrolled: 1-line block ×4, first 2 shown]
	v_add_f64 v[0:1], v[24:25], -v[0:1]
	v_add_f64 v[2:3], v[26:27], -v[2:3]
	v_fma_f64 v[16:17], v[6:7], s[8:9], v[32:33]
	v_fma_f64 v[18:19], v[4:5], s[8:9], v[34:35]
	;; [unrolled: 1-line block ×10, first 2 shown]
	v_fma_f64 v[16:17], v[24:25], 2.0, -v[0:1]
	v_fma_f64 v[18:19], v[26:27], 2.0, -v[2:3]
	;; [unrolled: 1-line block ×4, first 2 shown]
	v_fma_f64 v[40:41], v[80:81], s[2:3], v[72:73]
	v_fma_f64 v[42:43], v[82:83], s[2:3], v[74:75]
	v_fma_f64 v[28:29], v[50:51], 2.0, -v[12:13]
	v_fma_f64 v[30:31], v[48:49], 2.0, -v[14:15]
	v_fma_f64 v[48:49], v[60:61], s[14:15], v[76:77]
	v_fma_f64 v[50:51], v[62:63], s[14:15], v[78:79]
	v_fma_f64 v[20:21], v[32:33], 2.0, -v[4:5]
	v_fma_f64 v[22:23], v[34:35], 2.0, -v[6:7]
	v_add_f64 v[32:33], v[68:69], v[58:59]
	v_add_f64 v[34:35], v[70:71], -v[56:57]
	v_fma_f64 v[36:37], v[44:45], s[14:15], v[36:37]
	v_fma_f64 v[38:39], v[46:47], s[8:9], v[38:39]
	;; [unrolled: 1-line block ×6, first 2 shown]
	v_fma_f64 v[48:49], v[68:69], 2.0, -v[32:33]
	v_fma_f64 v[50:51], v[70:71], 2.0, -v[34:35]
	v_fma_f64 v[52:53], v[64:65], 2.0, -v[36:37]
	v_fma_f64 v[54:55], v[66:67], 2.0, -v[38:39]
	v_fma_f64 v[56:57], v[72:73], 2.0, -v[40:41]
	v_fma_f64 v[58:59], v[74:75], 2.0, -v[42:43]
	v_fma_f64 v[60:61], v[76:77], 2.0, -v[44:45]
	v_fma_f64 v[62:63], v[78:79], 2.0, -v[46:47]
	ds_write_b128 v163, v[16:19]
	ds_write_b128 v167, v[20:23] offset:544
	ds_write_b128 v167, v[24:27] offset:1088
	;; [unrolled: 1-line block ×15, first 2 shown]
	s_waitcnt lgkmcnt(0)
	s_barrier
	s_and_b64 exec, exec, vcc
	s_cbranch_execz .LBB0_15
; %bb.14:
	global_load_dwordx4 v[0:3], v196, s[16:17]
	ds_read_b128 v[4:7], v244
	v_mad_u64_u32 v[8:9], s[0:1], s6, v243, 0
	v_mad_u64_u32 v[10:11], s[0:1], s4, v255, 0
	v_or_b32_e32 v18, 0x60, v255
	v_mad_u64_u32 v[14:15], s[0:1], s7, v243, v[9:10]
	v_mov_b32_e32 v9, v14
	s_waitcnt vmcnt(0) lgkmcnt(0)
	v_mul_f64 v[12:13], v[6:7], v[2:3]
	v_mul_f64 v[2:3], v[4:5], v[2:3]
	v_fma_f64 v[4:5], v[4:5], v[0:1], v[12:13]
	v_fma_f64 v[0:1], v[0:1], v[6:7], -v[2:3]
	v_mad_u64_u32 v[15:16], s[0:1], s5, v255, v[11:12]
	s_mov_b32 s0, 0x1e1e1e1e
	s_mov_b32 s1, 0x3f5e1e1e
	v_lshlrev_b64 v[6:7], 4, v[8:9]
	v_mov_b32_e32 v11, v15
	v_mul_f64 v[2:3], v[4:5], s[0:1]
	v_mul_f64 v[4:5], v[0:1], s[0:1]
	v_mov_b32_e32 v12, s19
	v_lshlrev_b64 v[8:9], 4, v[10:11]
	v_add_co_u32_e32 v0, vcc, s18, v6
	v_addc_co_u32_e32 v1, vcc, v12, v7, vcc
	v_add_co_u32_e32 v6, vcc, v0, v8
	v_addc_co_u32_e32 v7, vcc, v1, v9, vcc
	global_store_dwordx4 v[6:7], v[2:5], off
	global_load_dwordx4 v[2:5], v196, s[16:17] offset:512
	ds_read_b128 v[6:9], v167 offset:512
	ds_read_b128 v[10:13], v167 offset:1024
	v_mad_u64_u32 v[16:17], s[2:3], s4, v242, 0
	s_waitcnt vmcnt(0) lgkmcnt(1)
	v_mul_f64 v[14:15], v[8:9], v[4:5]
	v_mul_f64 v[4:5], v[6:7], v[4:5]
	v_fma_f64 v[6:7], v[6:7], v[2:3], v[14:15]
	v_fma_f64 v[4:5], v[2:3], v[8:9], -v[4:5]
	v_mov_b32_e32 v2, v17
	v_mad_u64_u32 v[8:9], s[2:3], s5, v242, v[2:3]
	v_mov_b32_e32 v17, v8
	v_mul_f64 v[2:3], v[6:7], s[0:1]
	v_mul_f64 v[4:5], v[4:5], s[0:1]
	v_lshlrev_b64 v[6:7], 4, v[16:17]
	v_mad_u64_u32 v[8:9], s[2:3], s4, v241, 0
	v_add_co_u32_e32 v6, vcc, v0, v6
	v_addc_co_u32_e32 v7, vcc, v1, v7, vcc
	global_store_dwordx4 v[6:7], v[2:5], off
	global_load_dwordx4 v[2:5], v196, s[16:17] offset:1024
	v_mad_u64_u32 v[16:17], s[2:3], s4, v18, 0
	s_waitcnt vmcnt(0) lgkmcnt(0)
	v_mul_f64 v[6:7], v[12:13], v[4:5]
	v_mul_f64 v[4:5], v[10:11], v[4:5]
	v_fma_f64 v[6:7], v[10:11], v[2:3], v[6:7]
	v_fma_f64 v[4:5], v[2:3], v[12:13], -v[4:5]
	v_mov_b32_e32 v2, v9
	v_mad_u64_u32 v[9:10], s[2:3], s5, v241, v[2:3]
	v_mul_f64 v[2:3], v[6:7], s[0:1]
	v_mul_f64 v[4:5], v[4:5], s[0:1]
	v_lshlrev_b64 v[6:7], 4, v[8:9]
	v_add_co_u32_e32 v6, vcc, v0, v6
	v_addc_co_u32_e32 v7, vcc, v1, v7, vcc
	global_store_dwordx4 v[6:7], v[2:5], off
	global_load_dwordx4 v[2:5], v196, s[16:17] offset:1536
	ds_read_b128 v[6:9], v167 offset:1536
	ds_read_b128 v[10:13], v167 offset:2048
	s_waitcnt vmcnt(0) lgkmcnt(1)
	v_mul_f64 v[14:15], v[8:9], v[4:5]
	v_mul_f64 v[4:5], v[6:7], v[4:5]
	v_fma_f64 v[6:7], v[6:7], v[2:3], v[14:15]
	v_fma_f64 v[4:5], v[2:3], v[8:9], -v[4:5]
	v_mov_b32_e32 v2, v17
	v_mad_u64_u32 v[8:9], s[2:3], s5, v18, v[2:3]
	v_or_b32_e32 v14, 0x80, v255
	v_or_b32_e32 v18, 0xa0, v255
	v_mov_b32_e32 v17, v8
	v_mul_f64 v[2:3], v[6:7], s[0:1]
	v_mul_f64 v[4:5], v[4:5], s[0:1]
	v_lshlrev_b64 v[6:7], 4, v[16:17]
	v_mad_u64_u32 v[8:9], s[2:3], s4, v14, 0
	v_add_co_u32_e32 v6, vcc, v0, v6
	v_addc_co_u32_e32 v7, vcc, v1, v7, vcc
	global_store_dwordx4 v[6:7], v[2:5], off
	global_load_dwordx4 v[2:5], v196, s[16:17] offset:2048
	v_mad_u64_u32 v[16:17], s[2:3], s4, v18, 0
	s_waitcnt vmcnt(0) lgkmcnt(0)
	v_mul_f64 v[6:7], v[12:13], v[4:5]
	v_mul_f64 v[4:5], v[10:11], v[4:5]
	v_fma_f64 v[6:7], v[10:11], v[2:3], v[6:7]
	v_fma_f64 v[4:5], v[2:3], v[12:13], -v[4:5]
	v_mov_b32_e32 v2, v9
	v_mad_u64_u32 v[9:10], s[2:3], s5, v14, v[2:3]
	v_mul_f64 v[2:3], v[6:7], s[0:1]
	v_mul_f64 v[4:5], v[4:5], s[0:1]
	v_lshlrev_b64 v[6:7], 4, v[8:9]
	v_add_co_u32_e32 v6, vcc, v0, v6
	v_addc_co_u32_e32 v7, vcc, v1, v7, vcc
	global_store_dwordx4 v[6:7], v[2:5], off
	global_load_dwordx4 v[2:5], v196, s[16:17] offset:2560
	ds_read_b128 v[6:9], v167 offset:2560
	ds_read_b128 v[10:13], v167 offset:3072
	s_waitcnt vmcnt(0) lgkmcnt(1)
	v_mul_f64 v[14:15], v[8:9], v[4:5]
	v_mul_f64 v[4:5], v[6:7], v[4:5]
	v_fma_f64 v[6:7], v[6:7], v[2:3], v[14:15]
	v_fma_f64 v[4:5], v[2:3], v[8:9], -v[4:5]
	v_mov_b32_e32 v2, v17
	v_mad_u64_u32 v[8:9], s[2:3], s5, v18, v[2:3]
	v_or_b32_e32 v14, 0xc0, v255
	v_or_b32_e32 v18, 0xe0, v255
	v_mov_b32_e32 v17, v8
	v_mul_f64 v[2:3], v[6:7], s[0:1]
	v_mul_f64 v[4:5], v[4:5], s[0:1]
	v_lshlrev_b64 v[6:7], 4, v[16:17]
	v_mad_u64_u32 v[8:9], s[2:3], s4, v14, 0
	v_add_co_u32_e32 v6, vcc, v0, v6
	v_addc_co_u32_e32 v7, vcc, v1, v7, vcc
	global_store_dwordx4 v[6:7], v[2:5], off
	global_load_dwordx4 v[2:5], v196, s[16:17] offset:3072
	v_mad_u64_u32 v[16:17], s[2:3], s4, v18, 0
	s_waitcnt vmcnt(0) lgkmcnt(0)
	v_mul_f64 v[6:7], v[12:13], v[4:5]
	v_mul_f64 v[4:5], v[10:11], v[4:5]
	v_fma_f64 v[6:7], v[10:11], v[2:3], v[6:7]
	v_fma_f64 v[4:5], v[2:3], v[12:13], -v[4:5]
	v_mov_b32_e32 v2, v9
	v_mad_u64_u32 v[9:10], s[2:3], s5, v14, v[2:3]
	v_mul_f64 v[2:3], v[6:7], s[0:1]
	v_mul_f64 v[4:5], v[4:5], s[0:1]
	v_lshlrev_b64 v[6:7], 4, v[8:9]
	v_add_co_u32_e32 v6, vcc, v0, v6
	v_addc_co_u32_e32 v7, vcc, v1, v7, vcc
	global_store_dwordx4 v[6:7], v[2:5], off
	global_load_dwordx4 v[2:5], v196, s[16:17] offset:3584
	ds_read_b128 v[6:9], v167 offset:3584
	ds_read_b128 v[10:13], v167 offset:4096
	s_waitcnt vmcnt(0) lgkmcnt(1)
	v_mul_f64 v[14:15], v[8:9], v[4:5]
	v_mul_f64 v[4:5], v[6:7], v[4:5]
	v_fma_f64 v[6:7], v[6:7], v[2:3], v[14:15]
	v_fma_f64 v[4:5], v[2:3], v[8:9], -v[4:5]
	v_mov_b32_e32 v2, v17
	v_mad_u64_u32 v[8:9], s[2:3], s5, v18, v[2:3]
	v_or_b32_e32 v14, 0x100, v255
	v_lshlrev_b32_e32 v9, 4, v14
	v_mov_b32_e32 v17, v8
	v_mul_f64 v[2:3], v[6:7], s[0:1]
	v_mul_f64 v[4:5], v[4:5], s[0:1]
	v_lshlrev_b64 v[6:7], 4, v[16:17]
	v_or_b32_e32 v18, 0x120, v255
	v_add_co_u32_e32 v6, vcc, v0, v6
	v_addc_co_u32_e32 v7, vcc, v1, v7, vcc
	v_mad_u64_u32 v[16:17], s[2:3], s4, v18, 0
	global_store_dwordx4 v[6:7], v[2:5], off
	global_load_dwordx4 v[2:5], v9, s[16:17]
	v_mad_u64_u32 v[8:9], s[2:3], s4, v14, 0
	s_waitcnt vmcnt(0) lgkmcnt(0)
	v_mul_f64 v[6:7], v[12:13], v[4:5]
	v_mul_f64 v[4:5], v[10:11], v[4:5]
	v_fma_f64 v[6:7], v[10:11], v[2:3], v[6:7]
	v_fma_f64 v[4:5], v[2:3], v[12:13], -v[4:5]
	v_mov_b32_e32 v2, v9
	v_mad_u64_u32 v[9:10], s[2:3], s5, v14, v[2:3]
	v_lshlrev_b32_e32 v10, 4, v18
	v_mul_f64 v[2:3], v[6:7], s[0:1]
	v_mul_f64 v[4:5], v[4:5], s[0:1]
	v_lshlrev_b64 v[6:7], 4, v[8:9]
	v_add_co_u32_e32 v6, vcc, v0, v6
	v_addc_co_u32_e32 v7, vcc, v1, v7, vcc
	global_store_dwordx4 v[6:7], v[2:5], off
	global_load_dwordx4 v[2:5], v10, s[16:17]
	ds_read_b128 v[6:9], v167 offset:4608
	ds_read_b128 v[10:13], v167 offset:5120
	s_waitcnt vmcnt(0) lgkmcnt(1)
	v_mul_f64 v[14:15], v[8:9], v[4:5]
	v_mul_f64 v[4:5], v[6:7], v[4:5]
	v_fma_f64 v[6:7], v[6:7], v[2:3], v[14:15]
	v_fma_f64 v[4:5], v[2:3], v[8:9], -v[4:5]
	v_mov_b32_e32 v2, v17
	v_mad_u64_u32 v[8:9], s[2:3], s5, v18, v[2:3]
	v_or_b32_e32 v14, 0x140, v255
	v_lshlrev_b32_e32 v9, 4, v14
	v_mov_b32_e32 v17, v8
	v_mul_f64 v[2:3], v[6:7], s[0:1]
	v_mul_f64 v[4:5], v[4:5], s[0:1]
	v_lshlrev_b64 v[6:7], 4, v[16:17]
	v_or_b32_e32 v18, 0x160, v255
	v_add_co_u32_e32 v6, vcc, v0, v6
	v_addc_co_u32_e32 v7, vcc, v1, v7, vcc
	v_mad_u64_u32 v[16:17], s[2:3], s4, v18, 0
	global_store_dwordx4 v[6:7], v[2:5], off
	global_load_dwordx4 v[2:5], v9, s[16:17]
	v_mad_u64_u32 v[8:9], s[2:3], s4, v14, 0
	s_waitcnt vmcnt(0) lgkmcnt(0)
	v_mul_f64 v[6:7], v[12:13], v[4:5]
	v_mul_f64 v[4:5], v[10:11], v[4:5]
	v_fma_f64 v[6:7], v[10:11], v[2:3], v[6:7]
	v_fma_f64 v[4:5], v[2:3], v[12:13], -v[4:5]
	v_mov_b32_e32 v2, v9
	v_mad_u64_u32 v[9:10], s[2:3], s5, v14, v[2:3]
	v_lshlrev_b32_e32 v10, 4, v18
	v_mul_f64 v[2:3], v[6:7], s[0:1]
	v_mul_f64 v[4:5], v[4:5], s[0:1]
	v_lshlrev_b64 v[6:7], 4, v[8:9]
	v_add_co_u32_e32 v6, vcc, v0, v6
	v_addc_co_u32_e32 v7, vcc, v1, v7, vcc
	global_store_dwordx4 v[6:7], v[2:5], off
	global_load_dwordx4 v[2:5], v10, s[16:17]
	ds_read_b128 v[6:9], v167 offset:5632
	ds_read_b128 v[10:13], v167 offset:6144
	s_waitcnt vmcnt(0) lgkmcnt(1)
	v_mul_f64 v[14:15], v[8:9], v[4:5]
	v_mul_f64 v[4:5], v[6:7], v[4:5]
	v_fma_f64 v[6:7], v[6:7], v[2:3], v[14:15]
	v_fma_f64 v[4:5], v[2:3], v[8:9], -v[4:5]
	v_mov_b32_e32 v2, v17
	v_mad_u64_u32 v[8:9], s[2:3], s5, v18, v[2:3]
	v_or_b32_e32 v14, 0x180, v255
	v_lshlrev_b32_e32 v9, 4, v14
	v_mov_b32_e32 v17, v8
	v_mul_f64 v[2:3], v[6:7], s[0:1]
	v_mul_f64 v[4:5], v[4:5], s[0:1]
	v_lshlrev_b64 v[6:7], 4, v[16:17]
	v_or_b32_e32 v18, 0x1a0, v255
	v_add_co_u32_e32 v6, vcc, v0, v6
	v_addc_co_u32_e32 v7, vcc, v1, v7, vcc
	v_mad_u64_u32 v[16:17], s[2:3], s4, v18, 0
	global_store_dwordx4 v[6:7], v[2:5], off
	global_load_dwordx4 v[2:5], v9, s[16:17]
	v_mad_u64_u32 v[8:9], s[2:3], s4, v14, 0
	s_waitcnt vmcnt(0) lgkmcnt(0)
	v_mul_f64 v[6:7], v[12:13], v[4:5]
	v_mul_f64 v[4:5], v[10:11], v[4:5]
	v_fma_f64 v[6:7], v[10:11], v[2:3], v[6:7]
	v_fma_f64 v[4:5], v[2:3], v[12:13], -v[4:5]
	v_mov_b32_e32 v2, v9
	v_mad_u64_u32 v[9:10], s[2:3], s5, v14, v[2:3]
	v_lshlrev_b32_e32 v10, 4, v18
	v_mul_f64 v[2:3], v[6:7], s[0:1]
	v_mul_f64 v[4:5], v[4:5], s[0:1]
	v_lshlrev_b64 v[6:7], 4, v[8:9]
	v_add_co_u32_e32 v6, vcc, v0, v6
	v_addc_co_u32_e32 v7, vcc, v1, v7, vcc
	global_store_dwordx4 v[6:7], v[2:5], off
	global_load_dwordx4 v[2:5], v10, s[16:17]
	ds_read_b128 v[6:9], v167 offset:6656
	ds_read_b128 v[10:13], v167 offset:7168
	s_waitcnt vmcnt(0) lgkmcnt(1)
	v_mul_f64 v[14:15], v[8:9], v[4:5]
	v_mul_f64 v[4:5], v[6:7], v[4:5]
	v_fma_f64 v[6:7], v[6:7], v[2:3], v[14:15]
	v_fma_f64 v[4:5], v[2:3], v[8:9], -v[4:5]
	v_mov_b32_e32 v2, v17
	v_mad_u64_u32 v[8:9], s[2:3], s5, v18, v[2:3]
	v_or_b32_e32 v14, 0x1c0, v255
	v_lshlrev_b32_e32 v9, 4, v14
	v_mov_b32_e32 v17, v8
	v_mul_f64 v[2:3], v[6:7], s[0:1]
	v_mul_f64 v[4:5], v[4:5], s[0:1]
	v_lshlrev_b64 v[6:7], 4, v[16:17]
	v_or_b32_e32 v18, 0x1e0, v255
	v_add_co_u32_e32 v6, vcc, v0, v6
	v_addc_co_u32_e32 v7, vcc, v1, v7, vcc
	v_mad_u64_u32 v[16:17], s[2:3], s4, v18, 0
	global_store_dwordx4 v[6:7], v[2:5], off
	global_load_dwordx4 v[2:5], v9, s[16:17]
	v_mad_u64_u32 v[8:9], s[2:3], s4, v14, 0
	s_waitcnt vmcnt(0) lgkmcnt(0)
	v_mul_f64 v[6:7], v[12:13], v[4:5]
	v_mul_f64 v[4:5], v[10:11], v[4:5]
	v_fma_f64 v[6:7], v[10:11], v[2:3], v[6:7]
	v_fma_f64 v[4:5], v[2:3], v[12:13], -v[4:5]
	v_mov_b32_e32 v2, v9
	v_mad_u64_u32 v[9:10], s[2:3], s5, v14, v[2:3]
	v_lshlrev_b32_e32 v10, 4, v18
	v_mul_f64 v[2:3], v[6:7], s[0:1]
	v_mul_f64 v[4:5], v[4:5], s[0:1]
	v_lshlrev_b64 v[6:7], 4, v[8:9]
	v_add_co_u32_e32 v6, vcc, v0, v6
	v_addc_co_u32_e32 v7, vcc, v1, v7, vcc
	global_store_dwordx4 v[6:7], v[2:5], off
	global_load_dwordx4 v[2:5], v10, s[16:17]
	ds_read_b128 v[6:9], v167 offset:7680
	ds_read_b128 v[10:13], v167 offset:8192
	s_waitcnt vmcnt(0) lgkmcnt(1)
	v_mul_f64 v[14:15], v[8:9], v[4:5]
	v_mul_f64 v[4:5], v[6:7], v[4:5]
	v_fma_f64 v[6:7], v[6:7], v[2:3], v[14:15]
	v_fma_f64 v[4:5], v[2:3], v[8:9], -v[4:5]
	v_mov_b32_e32 v2, v17
	v_mad_u64_u32 v[8:9], s[2:3], s5, v18, v[2:3]
	v_or_b32_e32 v14, 0x200, v255
	v_lshlrev_b32_e32 v9, 4, v14
	v_mov_b32_e32 v17, v8
	v_mul_f64 v[2:3], v[6:7], s[0:1]
	v_mul_f64 v[4:5], v[4:5], s[0:1]
	v_lshlrev_b64 v[6:7], 4, v[16:17]
	v_add_co_u32_e32 v6, vcc, v0, v6
	v_addc_co_u32_e32 v7, vcc, v1, v7, vcc
	global_store_dwordx4 v[6:7], v[2:5], off
	global_load_dwordx4 v[2:5], v9, s[16:17]
	v_mad_u64_u32 v[8:9], s[2:3], s4, v14, 0
	s_waitcnt vmcnt(0) lgkmcnt(0)
	v_mul_f64 v[6:7], v[12:13], v[4:5]
	v_mul_f64 v[4:5], v[10:11], v[4:5]
	v_fma_f64 v[6:7], v[10:11], v[2:3], v[6:7]
	v_fma_f64 v[4:5], v[2:3], v[12:13], -v[4:5]
	v_mov_b32_e32 v2, v9
	v_mad_u64_u32 v[9:10], s[2:3], s5, v14, v[2:3]
	v_mul_f64 v[2:3], v[6:7], s[0:1]
	v_mul_f64 v[4:5], v[4:5], s[0:1]
	v_lshlrev_b64 v[6:7], 4, v[8:9]
	v_add_co_u32_e32 v0, vcc, v0, v6
	v_addc_co_u32_e32 v1, vcc, v1, v7, vcc
	global_store_dwordx4 v[0:1], v[2:5], off
.LBB0_15:
	s_endpgm
	.section	.rodata,"a",@progbits
	.p2align	6, 0x0
	.amdhsa_kernel bluestein_single_fwd_len544_dim1_dp_op_CI_CI
		.amdhsa_group_segment_fixed_size 26112
		.amdhsa_private_segment_fixed_size 356
		.amdhsa_kernarg_size 104
		.amdhsa_user_sgpr_count 6
		.amdhsa_user_sgpr_private_segment_buffer 1
		.amdhsa_user_sgpr_dispatch_ptr 0
		.amdhsa_user_sgpr_queue_ptr 0
		.amdhsa_user_sgpr_kernarg_segment_ptr 1
		.amdhsa_user_sgpr_dispatch_id 0
		.amdhsa_user_sgpr_flat_scratch_init 0
		.amdhsa_user_sgpr_private_segment_size 0
		.amdhsa_uses_dynamic_stack 0
		.amdhsa_system_sgpr_private_segment_wavefront_offset 1
		.amdhsa_system_sgpr_workgroup_id_x 1
		.amdhsa_system_sgpr_workgroup_id_y 0
		.amdhsa_system_sgpr_workgroup_id_z 0
		.amdhsa_system_sgpr_workgroup_info 0
		.amdhsa_system_vgpr_workitem_id 0
		.amdhsa_next_free_vgpr 256
		.amdhsa_next_free_sgpr 64
		.amdhsa_reserve_vcc 1
		.amdhsa_reserve_flat_scratch 0
		.amdhsa_float_round_mode_32 0
		.amdhsa_float_round_mode_16_64 0
		.amdhsa_float_denorm_mode_32 3
		.amdhsa_float_denorm_mode_16_64 3
		.amdhsa_dx10_clamp 1
		.amdhsa_ieee_mode 1
		.amdhsa_fp16_overflow 0
		.amdhsa_exception_fp_ieee_invalid_op 0
		.amdhsa_exception_fp_denorm_src 0
		.amdhsa_exception_fp_ieee_div_zero 0
		.amdhsa_exception_fp_ieee_overflow 0
		.amdhsa_exception_fp_ieee_underflow 0
		.amdhsa_exception_fp_ieee_inexact 0
		.amdhsa_exception_int_div_zero 0
	.end_amdhsa_kernel
	.text
.Lfunc_end0:
	.size	bluestein_single_fwd_len544_dim1_dp_op_CI_CI, .Lfunc_end0-bluestein_single_fwd_len544_dim1_dp_op_CI_CI
                                        ; -- End function
	.section	.AMDGPU.csdata,"",@progbits
; Kernel info:
; codeLenInByte = 26556
; NumSgprs: 68
; NumVgprs: 256
; ScratchSize: 356
; MemoryBound: 0
; FloatMode: 240
; IeeeMode: 1
; LDSByteSize: 26112 bytes/workgroup (compile time only)
; SGPRBlocks: 8
; VGPRBlocks: 63
; NumSGPRsForWavesPerEU: 68
; NumVGPRsForWavesPerEU: 256
; Occupancy: 1
; WaveLimiterHint : 1
; COMPUTE_PGM_RSRC2:SCRATCH_EN: 1
; COMPUTE_PGM_RSRC2:USER_SGPR: 6
; COMPUTE_PGM_RSRC2:TRAP_HANDLER: 0
; COMPUTE_PGM_RSRC2:TGID_X_EN: 1
; COMPUTE_PGM_RSRC2:TGID_Y_EN: 0
; COMPUTE_PGM_RSRC2:TGID_Z_EN: 0
; COMPUTE_PGM_RSRC2:TIDIG_COMP_CNT: 0
	.type	__hip_cuid_8e759bfd3b561622,@object ; @__hip_cuid_8e759bfd3b561622
	.section	.bss,"aw",@nobits
	.globl	__hip_cuid_8e759bfd3b561622
__hip_cuid_8e759bfd3b561622:
	.byte	0                               ; 0x0
	.size	__hip_cuid_8e759bfd3b561622, 1

	.ident	"AMD clang version 19.0.0git (https://github.com/RadeonOpenCompute/llvm-project roc-6.4.0 25133 c7fe45cf4b819c5991fe208aaa96edf142730f1d)"
	.section	".note.GNU-stack","",@progbits
	.addrsig
	.addrsig_sym __hip_cuid_8e759bfd3b561622
	.amdgpu_metadata
---
amdhsa.kernels:
  - .args:
      - .actual_access:  read_only
        .address_space:  global
        .offset:         0
        .size:           8
        .value_kind:     global_buffer
      - .actual_access:  read_only
        .address_space:  global
        .offset:         8
        .size:           8
        .value_kind:     global_buffer
      - .actual_access:  read_only
        .address_space:  global
        .offset:         16
        .size:           8
        .value_kind:     global_buffer
      - .actual_access:  read_only
        .address_space:  global
        .offset:         24
        .size:           8
        .value_kind:     global_buffer
      - .actual_access:  read_only
        .address_space:  global
        .offset:         32
        .size:           8
        .value_kind:     global_buffer
      - .offset:         40
        .size:           8
        .value_kind:     by_value
      - .address_space:  global
        .offset:         48
        .size:           8
        .value_kind:     global_buffer
      - .address_space:  global
        .offset:         56
        .size:           8
        .value_kind:     global_buffer
      - .address_space:  global
        .offset:         64
        .size:           8
        .value_kind:     global_buffer
      - .address_space:  global
        .offset:         72
        .size:           8
        .value_kind:     global_buffer
      - .offset:         80
        .size:           4
        .value_kind:     by_value
      - .address_space:  global
        .offset:         88
        .size:           8
        .value_kind:     global_buffer
      - .address_space:  global
        .offset:         96
        .size:           8
        .value_kind:     global_buffer
    .group_segment_fixed_size: 26112
    .kernarg_segment_align: 8
    .kernarg_segment_size: 104
    .language:       OpenCL C
    .language_version:
      - 2
      - 0
    .max_flat_workgroup_size: 102
    .name:           bluestein_single_fwd_len544_dim1_dp_op_CI_CI
    .private_segment_fixed_size: 356
    .sgpr_count:     68
    .sgpr_spill_count: 0
    .symbol:         bluestein_single_fwd_len544_dim1_dp_op_CI_CI.kd
    .uniform_work_group_size: 1
    .uses_dynamic_stack: false
    .vgpr_count:     256
    .vgpr_spill_count: 88
    .wavefront_size: 64
amdhsa.target:   amdgcn-amd-amdhsa--gfx906
amdhsa.version:
  - 1
  - 2
...

	.end_amdgpu_metadata
